;; amdgpu-corpus repo=ROCm/rocFFT kind=compiled arch=gfx906 opt=O3
	.text
	.amdgcn_target "amdgcn-amd-amdhsa--gfx906"
	.amdhsa_code_object_version 6
	.protected	fft_rtc_back_len1287_factors_3_13_3_11_wgs_117_tpt_117_dp_op_CI_CI_sbrr_dirReg ; -- Begin function fft_rtc_back_len1287_factors_3_13_3_11_wgs_117_tpt_117_dp_op_CI_CI_sbrr_dirReg
	.globl	fft_rtc_back_len1287_factors_3_13_3_11_wgs_117_tpt_117_dp_op_CI_CI_sbrr_dirReg
	.p2align	8
	.type	fft_rtc_back_len1287_factors_3_13_3_11_wgs_117_tpt_117_dp_op_CI_CI_sbrr_dirReg,@function
fft_rtc_back_len1287_factors_3_13_3_11_wgs_117_tpt_117_dp_op_CI_CI_sbrr_dirReg: ; @fft_rtc_back_len1287_factors_3_13_3_11_wgs_117_tpt_117_dp_op_CI_CI_sbrr_dirReg
; %bb.0:
	s_load_dwordx4 s[16:19], s[4:5], 0x18
	s_load_dwordx4 s[12:15], s[4:5], 0x0
	;; [unrolled: 1-line block ×3, first 2 shown]
	v_mul_u32_u24_e32 v1, 0x231, v0
	v_add_u32_sdwa v6, s6, v1 dst_sel:DWORD dst_unused:UNUSED_PAD src0_sel:DWORD src1_sel:WORD_1
	s_waitcnt lgkmcnt(0)
	s_load_dwordx2 s[2:3], s[16:17], 0x0
	s_load_dwordx2 s[20:21], s[18:19], 0x0
	v_cmp_lt_u64_e64 s[0:1], s[14:15], 2
	v_mov_b32_e32 v1, 0
	v_mov_b32_e32 v4, 0
	;; [unrolled: 1-line block ×3, first 2 shown]
	s_and_b64 vcc, exec, s[0:1]
	v_mov_b32_e32 v5, 0
	s_cbranch_vccnz .LBB0_8
; %bb.1:
	s_load_dwordx2 s[0:1], s[4:5], 0x10
	s_add_u32 s6, s18, 8
	s_addc_u32 s7, s19, 0
	s_add_u32 s22, s16, 8
	v_mov_b32_e32 v4, 0
	s_addc_u32 s23, s17, 0
	v_mov_b32_e32 v5, 0
	s_waitcnt lgkmcnt(0)
	s_add_u32 s24, s0, 8
	v_mov_b32_e32 v57, v5
	s_addc_u32 s25, s1, 0
	s_mov_b64 s[26:27], 1
	v_mov_b32_e32 v56, v4
.LBB0_2:                                ; =>This Inner Loop Header: Depth=1
	s_load_dwordx2 s[28:29], s[24:25], 0x0
                                        ; implicit-def: $vgpr58_vgpr59
	s_waitcnt lgkmcnt(0)
	v_or_b32_e32 v2, s29, v7
	v_cmp_ne_u64_e32 vcc, 0, v[1:2]
	s_and_saveexec_b64 s[0:1], vcc
	s_xor_b64 s[30:31], exec, s[0:1]
	s_cbranch_execz .LBB0_4
; %bb.3:                                ;   in Loop: Header=BB0_2 Depth=1
	v_cvt_f32_u32_e32 v2, s28
	v_cvt_f32_u32_e32 v3, s29
	s_sub_u32 s0, 0, s28
	s_subb_u32 s1, 0, s29
	v_mac_f32_e32 v2, 0x4f800000, v3
	v_rcp_f32_e32 v2, v2
	v_mul_f32_e32 v2, 0x5f7ffffc, v2
	v_mul_f32_e32 v3, 0x2f800000, v2
	v_trunc_f32_e32 v3, v3
	v_mac_f32_e32 v2, 0xcf800000, v3
	v_cvt_u32_f32_e32 v3, v3
	v_cvt_u32_f32_e32 v2, v2
	v_mul_lo_u32 v8, s0, v3
	v_mul_hi_u32 v9, s0, v2
	v_mul_lo_u32 v11, s1, v2
	v_mul_lo_u32 v10, s0, v2
	v_add_u32_e32 v8, v9, v8
	v_add_u32_e32 v8, v8, v11
	v_mul_hi_u32 v9, v2, v10
	v_mul_lo_u32 v11, v2, v8
	v_mul_hi_u32 v13, v2, v8
	v_mul_hi_u32 v12, v3, v10
	v_mul_lo_u32 v10, v3, v10
	v_mul_hi_u32 v14, v3, v8
	v_add_co_u32_e32 v9, vcc, v9, v11
	v_addc_co_u32_e32 v11, vcc, 0, v13, vcc
	v_mul_lo_u32 v8, v3, v8
	v_add_co_u32_e32 v9, vcc, v9, v10
	v_addc_co_u32_e32 v9, vcc, v11, v12, vcc
	v_addc_co_u32_e32 v10, vcc, 0, v14, vcc
	v_add_co_u32_e32 v8, vcc, v9, v8
	v_addc_co_u32_e32 v9, vcc, 0, v10, vcc
	v_add_co_u32_e32 v2, vcc, v2, v8
	v_addc_co_u32_e32 v3, vcc, v3, v9, vcc
	v_mul_lo_u32 v8, s0, v3
	v_mul_hi_u32 v9, s0, v2
	v_mul_lo_u32 v10, s1, v2
	v_mul_lo_u32 v11, s0, v2
	v_add_u32_e32 v8, v9, v8
	v_add_u32_e32 v8, v8, v10
	v_mul_lo_u32 v12, v2, v8
	v_mul_hi_u32 v13, v2, v11
	v_mul_hi_u32 v14, v2, v8
	;; [unrolled: 1-line block ×3, first 2 shown]
	v_mul_lo_u32 v11, v3, v11
	v_mul_hi_u32 v9, v3, v8
	v_add_co_u32_e32 v12, vcc, v13, v12
	v_addc_co_u32_e32 v13, vcc, 0, v14, vcc
	v_mul_lo_u32 v8, v3, v8
	v_add_co_u32_e32 v11, vcc, v12, v11
	v_addc_co_u32_e32 v10, vcc, v13, v10, vcc
	v_addc_co_u32_e32 v9, vcc, 0, v9, vcc
	v_add_co_u32_e32 v8, vcc, v10, v8
	v_addc_co_u32_e32 v9, vcc, 0, v9, vcc
	v_add_co_u32_e32 v8, vcc, v2, v8
	v_addc_co_u32_e32 v9, vcc, v3, v9, vcc
	v_mad_u64_u32 v[2:3], s[0:1], v6, v9, 0
	v_mul_hi_u32 v10, v6, v8
	v_add_co_u32_e32 v10, vcc, v10, v2
	v_addc_co_u32_e32 v11, vcc, 0, v3, vcc
	v_mad_u64_u32 v[2:3], s[0:1], v7, v8, 0
	v_mad_u64_u32 v[8:9], s[0:1], v7, v9, 0
	v_add_co_u32_e32 v2, vcc, v10, v2
	v_addc_co_u32_e32 v2, vcc, v11, v3, vcc
	v_addc_co_u32_e32 v3, vcc, 0, v9, vcc
	v_add_co_u32_e32 v8, vcc, v2, v8
	v_addc_co_u32_e32 v9, vcc, 0, v3, vcc
	v_mul_lo_u32 v10, s29, v8
	v_mul_lo_u32 v11, s28, v9
	v_mad_u64_u32 v[2:3], s[0:1], s28, v8, 0
	v_add3_u32 v3, v3, v11, v10
	v_sub_u32_e32 v10, v7, v3
	v_mov_b32_e32 v11, s29
	v_sub_co_u32_e32 v2, vcc, v6, v2
	v_subb_co_u32_e64 v10, s[0:1], v10, v11, vcc
	v_subrev_co_u32_e64 v11, s[0:1], s28, v2
	v_subbrev_co_u32_e64 v10, s[0:1], 0, v10, s[0:1]
	v_cmp_le_u32_e64 s[0:1], s29, v10
	v_cndmask_b32_e64 v12, 0, -1, s[0:1]
	v_cmp_le_u32_e64 s[0:1], s28, v11
	v_cndmask_b32_e64 v11, 0, -1, s[0:1]
	v_cmp_eq_u32_e64 s[0:1], s29, v10
	v_cndmask_b32_e64 v10, v12, v11, s[0:1]
	v_add_co_u32_e64 v11, s[0:1], 2, v8
	v_addc_co_u32_e64 v12, s[0:1], 0, v9, s[0:1]
	v_add_co_u32_e64 v13, s[0:1], 1, v8
	v_addc_co_u32_e64 v14, s[0:1], 0, v9, s[0:1]
	v_subb_co_u32_e32 v3, vcc, v7, v3, vcc
	v_cmp_ne_u32_e64 s[0:1], 0, v10
	v_cmp_le_u32_e32 vcc, s29, v3
	v_cndmask_b32_e64 v10, v14, v12, s[0:1]
	v_cndmask_b32_e64 v12, 0, -1, vcc
	v_cmp_le_u32_e32 vcc, s28, v2
	v_cndmask_b32_e64 v2, 0, -1, vcc
	v_cmp_eq_u32_e32 vcc, s29, v3
	v_cndmask_b32_e32 v2, v12, v2, vcc
	v_cmp_ne_u32_e32 vcc, 0, v2
	v_cndmask_b32_e64 v2, v13, v11, s[0:1]
	v_cndmask_b32_e32 v59, v9, v10, vcc
	v_cndmask_b32_e32 v58, v8, v2, vcc
.LBB0_4:                                ;   in Loop: Header=BB0_2 Depth=1
	s_andn2_saveexec_b64 s[0:1], s[30:31]
	s_cbranch_execz .LBB0_6
; %bb.5:                                ;   in Loop: Header=BB0_2 Depth=1
	v_cvt_f32_u32_e32 v2, s28
	s_sub_i32 s30, 0, s28
	v_mov_b32_e32 v59, v1
	v_rcp_iflag_f32_e32 v2, v2
	v_mul_f32_e32 v2, 0x4f7ffffe, v2
	v_cvt_u32_f32_e32 v2, v2
	v_mul_lo_u32 v3, s30, v2
	v_mul_hi_u32 v3, v2, v3
	v_add_u32_e32 v2, v2, v3
	v_mul_hi_u32 v2, v6, v2
	v_mul_lo_u32 v3, v2, s28
	v_add_u32_e32 v8, 1, v2
	v_sub_u32_e32 v3, v6, v3
	v_subrev_u32_e32 v9, s28, v3
	v_cmp_le_u32_e32 vcc, s28, v3
	v_cndmask_b32_e32 v3, v3, v9, vcc
	v_cndmask_b32_e32 v2, v2, v8, vcc
	v_add_u32_e32 v8, 1, v2
	v_cmp_le_u32_e32 vcc, s28, v3
	v_cndmask_b32_e32 v58, v2, v8, vcc
.LBB0_6:                                ;   in Loop: Header=BB0_2 Depth=1
	s_or_b64 exec, exec, s[0:1]
	v_mul_lo_u32 v8, v59, s28
	v_mul_lo_u32 v9, v58, s29
	v_mad_u64_u32 v[2:3], s[0:1], v58, s28, 0
	s_load_dwordx2 s[0:1], s[22:23], 0x0
	s_load_dwordx2 s[28:29], s[6:7], 0x0
	v_add3_u32 v3, v3, v9, v8
	v_sub_co_u32_e32 v2, vcc, v6, v2
	v_subb_co_u32_e32 v3, vcc, v7, v3, vcc
	s_waitcnt lgkmcnt(0)
	v_mul_lo_u32 v6, s0, v3
	v_mul_lo_u32 v7, s1, v2
	v_mad_u64_u32 v[4:5], s[0:1], s0, v2, v[4:5]
	v_mul_lo_u32 v3, s28, v3
	v_mul_lo_u32 v8, s29, v2
	v_mad_u64_u32 v[56:57], s[0:1], s28, v2, v[56:57]
	s_add_u32 s26, s26, 1
	s_addc_u32 s27, s27, 0
	s_add_u32 s6, s6, 8
	v_add3_u32 v57, v8, v57, v3
	s_addc_u32 s7, s7, 0
	v_mov_b32_e32 v2, s14
	s_add_u32 s22, s22, 8
	v_mov_b32_e32 v3, s15
	s_addc_u32 s23, s23, 0
	v_cmp_ge_u64_e32 vcc, s[26:27], v[2:3]
	s_add_u32 s24, s24, 8
	v_add3_u32 v5, v7, v5, v6
	s_addc_u32 s25, s25, 0
	s_cbranch_vccnz .LBB0_9
; %bb.7:                                ;   in Loop: Header=BB0_2 Depth=1
	v_mov_b32_e32 v6, v58
	v_mov_b32_e32 v7, v59
	s_branch .LBB0_2
.LBB0_8:
	v_mov_b32_e32 v57, v5
	v_mov_b32_e32 v59, v7
	;; [unrolled: 1-line block ×4, first 2 shown]
.LBB0_9:
	s_load_dwordx2 s[0:1], s[4:5], 0x28
	s_lshl_b64 s[14:15], s[14:15], 3
	s_add_u32 s4, s18, s14
	s_addc_u32 s5, s19, s15
                                        ; implicit-def: $sgpr18
                                        ; implicit-def: $vgpr193
                                        ; implicit-def: $vgpr194
                                        ; implicit-def: $vgpr195
	s_waitcnt lgkmcnt(0)
	v_cmp_gt_u64_e32 vcc, s[0:1], v[58:59]
	v_cmp_le_u64_e64 s[0:1], s[0:1], v[58:59]
	s_and_saveexec_b64 s[6:7], s[0:1]
	s_xor_b64 s[0:1], exec, s[6:7]
; %bb.10:
	s_mov_b32 s6, 0x2302303
	v_mul_hi_u32 v1, v0, s6
	s_mov_b32 s18, 0
                                        ; implicit-def: $vgpr4_vgpr5
	v_mul_u32_u24_e32 v1, 0x75, v1
	v_sub_u32_e32 v193, v0, v1
	v_add_u32_e32 v194, 0x75, v193
	v_add_u32_e32 v195, 0xea, v193
                                        ; implicit-def: $vgpr0
; %bb.11:
	s_or_saveexec_b64 s[6:7], s[0:1]
	s_load_dwordx2 s[4:5], s[4:5], 0x0
	v_mov_b32_e32 v192, s18
                                        ; implicit-def: $vgpr52_vgpr53
                                        ; implicit-def: $vgpr48_vgpr49
                                        ; implicit-def: $vgpr44_vgpr45
                                        ; implicit-def: $vgpr36_vgpr37
                                        ; implicit-def: $vgpr40_vgpr41
                                        ; implicit-def: $vgpr26_vgpr27
                                        ; implicit-def: $vgpr14_vgpr15
                                        ; implicit-def: $vgpr18_vgpr19
                                        ; implicit-def: $vgpr22_vgpr23
                                        ; implicit-def: $vgpr6_vgpr7
                                        ; implicit-def: $vgpr10_vgpr11
                                        ; implicit-def: $vgpr2_vgpr3
	s_xor_b64 exec, exec, s[6:7]
	s_cbranch_execz .LBB0_15
; %bb.12:
	s_add_u32 s0, s16, s14
	s_mov_b32 s14, 0x2302303
	s_addc_u32 s1, s17, s15
	v_mul_hi_u32 v1, v0, s14
	s_load_dwordx2 s[0:1], s[0:1], 0x0
	v_mul_u32_u24_e32 v1, 0x75, v1
	v_sub_u32_e32 v193, v0, v1
	s_waitcnt lgkmcnt(0)
	v_mul_lo_u32 v8, s1, v58
	v_mad_u64_u32 v[0:1], s[14:15], s2, v193, 0
	v_mul_lo_u32 v9, s0, v59
	v_mad_u64_u32 v[2:3], s[0:1], s0, v58, 0
	v_add_u32_e32 v194, 0x75, v193
	v_add_u32_e32 v195, 0xea, v193
	v_mad_u64_u32 v[6:7], s[0:1], s3, v193, v[1:2]
	v_add3_u32 v3, v3, v9, v8
	v_lshlrev_b64 v[2:3], 4, v[2:3]
	v_mov_b32_e32 v1, v6
	v_mov_b32_e32 v6, s9
	v_add_co_u32_e64 v7, s[0:1], s8, v2
	v_add_u32_e32 v8, 0x1ad, v193
	v_addc_co_u32_e64 v6, s[0:1], v6, v3, s[0:1]
	v_lshlrev_b64 v[2:3], 4, v[4:5]
	v_mad_u64_u32 v[4:5], s[0:1], s2, v8, 0
	v_add_co_u32_e64 v28, s[0:1], v7, v2
	v_mov_b32_e32 v2, v5
	v_addc_co_u32_e64 v29, s[0:1], v6, v3, s[0:1]
	v_mad_u64_u32 v[2:3], s[0:1], s3, v8, v[2:3]
	v_add_u32_e32 v3, 0x35a, v193
	v_mad_u64_u32 v[6:7], s[0:1], s2, v3, 0
	v_lshlrev_b64 v[0:1], 4, v[0:1]
	v_mov_b32_e32 v5, v2
	v_add_co_u32_e64 v12, s[0:1], v28, v0
	v_mov_b32_e32 v2, v7
	v_addc_co_u32_e64 v13, s[0:1], v29, v1, s[0:1]
	v_mad_u64_u32 v[2:3], s[0:1], s3, v3, v[2:3]
	v_lshlrev_b64 v[0:1], 4, v[4:5]
	v_mad_u64_u32 v[3:4], s[0:1], s2, v194, 0
	v_add_co_u32_e64 v14, s[0:1], v28, v0
	v_mov_b32_e32 v7, v2
	v_mov_b32_e32 v2, v4
	v_addc_co_u32_e64 v15, s[0:1], v29, v1, s[0:1]
	v_lshlrev_b64 v[0:1], 4, v[6:7]
	v_mad_u64_u32 v[4:5], s[0:1], s3, v194, v[2:3]
	v_add_u32_e32 v7, 0x222, v193
	v_mad_u64_u32 v[5:6], s[0:1], s2, v7, 0
	v_add_co_u32_e64 v30, s[0:1], v28, v0
	v_mov_b32_e32 v2, v6
	v_addc_co_u32_e64 v31, s[0:1], v29, v1, s[0:1]
	v_lshlrev_b64 v[0:1], 4, v[3:4]
	v_mad_u64_u32 v[2:3], s[0:1], s3, v7, v[2:3]
	v_add_u32_e32 v7, 0x3cf, v193
	v_mad_u64_u32 v[3:4], s[0:1], s2, v7, 0
	v_add_co_u32_e64 v32, s[0:1], v28, v0
	v_mov_b32_e32 v6, v2
	v_mov_b32_e32 v2, v4
	v_addc_co_u32_e64 v33, s[0:1], v29, v1, s[0:1]
	v_lshlrev_b64 v[0:1], 4, v[5:6]
	v_mad_u64_u32 v[4:5], s[0:1], s3, v7, v[2:3]
	v_mad_u64_u32 v[5:6], s[0:1], s2, v195, 0
	v_add_co_u32_e64 v42, s[0:1], v28, v0
	v_mov_b32_e32 v2, v6
	v_addc_co_u32_e64 v43, s[0:1], v29, v1, s[0:1]
	v_lshlrev_b64 v[0:1], 4, v[3:4]
	v_mad_u64_u32 v[2:3], s[0:1], s3, v195, v[2:3]
	v_add_u32_e32 v7, 0x297, v193
	v_mad_u64_u32 v[3:4], s[0:1], s2, v7, 0
	v_add_co_u32_e64 v44, s[0:1], v28, v0
	v_mov_b32_e32 v6, v2
	v_mov_b32_e32 v2, v4
	v_addc_co_u32_e64 v45, s[0:1], v29, v1, s[0:1]
	v_lshlrev_b64 v[0:1], 4, v[5:6]
	v_mad_u64_u32 v[4:5], s[0:1], s3, v7, v[2:3]
	v_add_u32_e32 v7, 0x444, v193
	v_mad_u64_u32 v[5:6], s[0:1], s2, v7, 0
	v_add_co_u32_e64 v46, s[0:1], v28, v0
	v_mov_b32_e32 v2, v6
	v_addc_co_u32_e64 v47, s[0:1], v29, v1, s[0:1]
	v_mad_u64_u32 v[6:7], s[0:1], s3, v7, v[2:3]
	v_lshlrev_b64 v[0:1], 4, v[3:4]
	v_add_co_u32_e64 v48, s[0:1], v28, v0
	v_lshlrev_b64 v[4:5], 4, v[5:6]
	v_addc_co_u32_e64 v49, s[0:1], v29, v1, s[0:1]
	v_add_co_u32_e64 v50, s[0:1], v28, v4
	global_load_dwordx4 v[0:3], v[12:13], off
	global_load_dwordx4 v[8:11], v[14:15], off
	v_addc_co_u32_e64 v51, s[0:1], v29, v5, s[0:1]
	global_load_dwordx4 v[4:7], v[30:31], off
	global_load_dwordx4 v[20:23], v[32:33], off
	;; [unrolled: 1-line block ×7, first 2 shown]
	s_movk_i32 s0, 0x4e
	v_cmp_gt_u32_e64 s[0:1], s0, v193
                                        ; implicit-def: $vgpr42_vgpr43
                                        ; implicit-def: $vgpr46_vgpr47
                                        ; implicit-def: $vgpr50_vgpr51
	s_and_saveexec_b64 s[8:9], s[0:1]
	s_cbranch_execz .LBB0_14
; %bb.13:
	v_add_u32_e32 v42, 0x15f, v193
	v_add_u32_e32 v44, 0x30c, v193
	v_mad_u64_u32 v[30:31], s[0:1], s2, v42, 0
	v_mad_u64_u32 v[32:33], s[0:1], s2, v44, 0
	;; [unrolled: 1-line block ×3, first 2 shown]
	v_mov_b32_e32 v31, v42
	s_waitcnt vmcnt(0)
	v_mad_u64_u32 v[42:43], s[0:1], s3, v44, v[33:34]
	v_add_u32_e32 v43, 0x4b9, v193
	v_mad_u64_u32 v[50:51], s[0:1], s2, v43, 0
	v_lshlrev_b64 v[30:31], 4, v[30:31]
	v_mov_b32_e32 v33, v42
	v_add_co_u32_e64 v30, s[0:1], v28, v30
	v_mov_b32_e32 v42, v51
	v_addc_co_u32_e64 v31, s[0:1], v29, v31, s[0:1]
	v_mad_u64_u32 v[51:52], s[0:1], s3, v43, v[42:43]
	v_lshlrev_b64 v[32:33], 4, v[32:33]
	v_add_co_u32_e64 v32, s[0:1], v28, v32
	v_addc_co_u32_e64 v33, s[0:1], v29, v33, s[0:1]
	global_load_dwordx4 v[42:45], v[30:31], off
	global_load_dwordx4 v[46:49], v[32:33], off
	v_lshlrev_b64 v[30:31], 4, v[50:51]
	v_add_co_u32_e64 v28, s[0:1], v28, v30
	v_addc_co_u32_e64 v29, s[0:1], v29, v31, s[0:1]
	global_load_dwordx4 v[50:53], v[28:29], off
.LBB0_14:
	s_or_b64 exec, exec, s[8:9]
	v_mov_b32_e32 v192, v193
.LBB0_15:
	s_or_b64 exec, exec, s[6:7]
	s_waitcnt vmcnt(6)
	v_add_f64 v[28:29], v[4:5], v[8:9]
	v_add_f64 v[30:31], v[8:9], v[0:1]
	v_add_f64 v[32:33], v[10:11], -v[6:7]
	v_add_f64 v[54:55], v[6:7], v[10:11]
	s_waitcnt vmcnt(3)
	v_add_f64 v[62:63], v[12:13], v[16:17]
	s_mov_b32 s0, 0xe8584caa
	s_mov_b32 s1, 0xbfebb67a
	;; [unrolled: 1-line block ×3, first 2 shown]
	v_fma_f64 v[28:29], v[28:29], -0.5, v[0:1]
	s_mov_b32 s2, s0
	v_add_f64 v[10:11], v[10:11], v[2:3]
	v_add_f64 v[60:61], v[8:9], -v[4:5]
	v_add_f64 v[0:1], v[4:5], v[30:31]
	v_fma_f64 v[30:31], v[54:55], -0.5, v[2:3]
	v_add_f64 v[54:55], v[18:19], -v[14:15]
	v_fma_f64 v[4:5], v[32:33], s[0:1], v[28:29]
	v_fma_f64 v[8:9], v[32:33], s[2:3], v[28:29]
	v_add_f64 v[28:29], v[14:15], v[18:19]
	v_add_f64 v[32:33], v[16:17], v[20:21]
	v_fma_f64 v[20:21], v[62:63], -0.5, v[20:21]
	s_waitcnt vmcnt(0)
	v_add_f64 v[62:63], v[34:35], v[38:39]
	v_add_f64 v[2:3], v[6:7], v[10:11]
	v_fma_f64 v[6:7], v[60:61], s[2:3], v[30:31]
	v_fma_f64 v[10:11], v[60:61], s[0:1], v[30:31]
	v_add_f64 v[18:19], v[18:19], v[22:23]
	v_fma_f64 v[22:23], v[28:29], -0.5, v[22:23]
	v_add_f64 v[28:29], v[16:17], -v[12:13]
	v_add_f64 v[12:13], v[12:13], v[32:33]
	v_add_f64 v[30:31], v[38:39], v[24:25]
	v_fma_f64 v[32:33], v[62:63], -0.5, v[24:25]
	v_add_f64 v[60:61], v[40:41], -v[36:37]
	v_fma_f64 v[16:17], v[54:55], s[0:1], v[20:21]
	v_fma_f64 v[20:21], v[54:55], s[2:3], v[20:21]
	v_add_f64 v[14:15], v[14:15], v[18:19]
	v_fma_f64 v[18:19], v[28:29], s[2:3], v[22:23]
	v_add_f64 v[54:55], v[36:37], v[40:41]
	;; [unrolled: 2-line block ×3, first 2 shown]
	v_add_f64 v[30:31], v[50:51], v[46:47]
	v_fma_f64 v[28:29], v[60:61], s[0:1], v[32:33]
	v_fma_f64 v[32:33], v[60:61], s[2:3], v[32:33]
	v_add_f64 v[60:61], v[52:53], v[48:49]
	v_add_f64 v[40:41], v[40:41], v[26:27]
	v_fma_f64 v[54:55], v[54:55], -0.5, v[26:27]
	v_add_f64 v[34:35], v[38:39], -v[34:35]
	v_add_f64 v[38:39], v[46:47], v[42:43]
	v_fma_f64 v[42:43], v[30:31], -0.5, v[42:43]
	v_add_f64 v[62:63], v[48:49], -v[52:53]
	;; [unrolled: 3-line block ×3, first 2 shown]
	v_add_f64 v[26:27], v[36:37], v[40:41]
	v_fma_f64 v[30:31], v[34:35], s[2:3], v[54:55]
	v_fma_f64 v[34:35], v[34:35], s[0:1], v[54:55]
	v_add_f64 v[36:37], v[50:51], v[38:39]
	v_fma_f64 v[40:41], v[62:63], s[0:1], v[42:43]
	v_fma_f64 v[44:45], v[62:63], s[2:3], v[42:43]
	;; [unrolled: 3-line block ×3, first 2 shown]
	v_mad_u32_u24 v48, v193, 48, 0
	v_mad_i32_i24 v49, v194, 48, 0
	s_movk_i32 s0, 0x4e
	ds_write_b128 v48, v[0:3]
	ds_write_b128 v48, v[4:7] offset:16
	ds_write_b128 v48, v[8:11] offset:32
	ds_write_b128 v49, v[12:15]
	ds_write_b128 v49, v[16:19] offset:16
	ds_write_b128 v49, v[20:23] offset:32
	v_mad_i32_i24 v49, v195, 48, 0
	v_cmp_gt_u32_e64 s[0:1], s0, v193
	ds_write_b128 v49, v[24:27]
	ds_write_b128 v49, v[28:31] offset:16
	ds_write_b128 v49, v[32:35] offset:32
	s_and_saveexec_b64 s[2:3], s[0:1]
	s_cbranch_execz .LBB0_17
; %bb.16:
	ds_write_b128 v48, v[36:39] offset:16848
	ds_write_b128 v48, v[40:43] offset:16864
	;; [unrolled: 1-line block ×3, first 2 shown]
.LBB0_17:
	s_or_b64 exec, exec, s[2:3]
	s_movk_i32 s2, 0x63
	v_cmp_gt_u32_e64 s[2:3], s2, v193
	s_waitcnt lgkmcnt(0)
	s_barrier
	s_waitcnt lgkmcnt(0)
                                        ; implicit-def: $vgpr50_vgpr51
	s_and_saveexec_b64 s[6:7], s[2:3]
	s_cbranch_execz .LBB0_19
; %bb.18:
	v_lshlrev_b32_e32 v0, 5, v193
	v_sub_u32_e32 v48, v48, v0
	ds_read_b128 v[0:3], v48
	ds_read_b128 v[4:7], v48 offset:1584
	ds_read_b128 v[8:11], v48 offset:3168
	;; [unrolled: 1-line block ×12, first 2 shown]
.LBB0_19:
	s_or_b64 exec, exec, s[6:7]
	s_movk_i32 s6, 0xab
	v_mul_lo_u16_sdwa v52, v193, s6 dst_sel:DWORD dst_unused:UNUSED_PAD src0_sel:BYTE_0 src1_sel:DWORD
	v_lshrrev_b16_e32 v196, 9, v52
	v_mul_lo_u16_e32 v52, 3, v196
	v_sub_u16_e32 v197, v193, v52
	v_mov_b32_e32 v52, 12
	v_mul_u32_u24_sdwa v52, v197, v52 dst_sel:DWORD dst_unused:UNUSED_PAD src0_sel:BYTE_0 src1_sel:DWORD
	v_lshlrev_b32_e32 v76, 4, v52
	global_load_dwordx4 v[52:55], v76, s[12:13]
	global_load_dwordx4 v[60:63], v76, s[12:13] offset:16
	global_load_dwordx4 v[64:67], v76, s[12:13] offset:32
	;; [unrolled: 1-line block ×11, first 2 shown]
	s_mov_b32 s6, 0x1ea71119
	s_mov_b32 s8, 0x42a4c3d2
	;; [unrolled: 1-line block ×34, first 2 shown]
	s_waitcnt vmcnt(0) lgkmcnt(0)
	s_barrier
	v_mul_f64 v[76:77], v[6:7], v[54:55]
	v_mul_f64 v[54:55], v[4:5], v[54:55]
	v_mul_f64 v[86:87], v[10:11], v[62:63]
	v_mul_f64 v[114:115], v[14:15], v[66:67]
	v_mul_f64 v[66:67], v[12:13], v[66:67]
	v_mul_f64 v[120:121], v[22:23], v[74:75]
	v_mul_f64 v[62:63], v[8:9], v[62:63]
	v_mul_f64 v[116:117], v[18:19], v[70:71]
	v_mul_f64 v[118:119], v[16:17], v[70:71]
	v_mul_f64 v[74:75], v[20:21], v[74:75]
	v_mul_f64 v[124:125], v[24:25], v[80:81]
	v_mul_f64 v[138:139], v[48:49], v[112:113]
	v_mul_f64 v[126:127], v[30:31], v[84:85]
	v_mul_f64 v[84:85], v[28:29], v[84:85]
	v_mul_f64 v[128:129], v[34:35], v[90:91]
	v_mul_f64 v[90:91], v[32:33], v[90:91]
	v_mul_f64 v[132:133], v[42:43], v[104:105]
	v_mul_f64 v[134:135], v[40:41], v[104:105]
	v_mul_f64 v[136:137], v[46:47], v[108:109]
	v_mul_f64 v[108:109], v[44:45], v[108:109]
	v_mul_f64 v[112:113], v[50:51], v[112:113]
	v_fma_f64 v[104:105], v[6:7], v[52:53], -v[54:55]
	v_fma_f64 v[92:93], v[8:9], v[60:61], v[86:87]
	v_fma_f64 v[86:87], v[14:15], v[64:65], -v[66:67]
	v_fma_f64 v[66:67], v[20:21], v[72:73], v[120:121]
	v_fma_f64 v[20:21], v[50:51], v[110:111], -v[138:139]
	v_mul_f64 v[122:123], v[26:27], v[80:81]
	v_fma_f64 v[96:97], v[4:5], v[52:53], v[76:77]
	v_fma_f64 v[94:95], v[10:11], v[60:61], -v[62:63]
	v_fma_f64 v[80:81], v[12:13], v[64:65], v[114:115]
	v_fma_f64 v[70:71], v[16:17], v[68:69], v[116:117]
	v_fma_f64 v[76:77], v[18:19], v[68:69], -v[118:119]
	v_fma_f64 v[68:69], v[22:23], v[72:73], -v[74:75]
	;; [unrolled: 1-line block ×3, first 2 shown]
	v_fma_f64 v[54:55], v[28:29], v[82:83], v[126:127]
	v_fma_f64 v[60:61], v[30:31], v[82:83], -v[84:85]
	v_fma_f64 v[50:51], v[34:35], v[88:89], -v[90:91]
	v_fma_f64 v[22:23], v[48:49], v[110:111], v[112:113]
	v_fma_f64 v[26:27], v[46:47], v[106:107], -v[108:109]
	v_add_f64 v[90:91], v[104:105], -v[20:21]
	v_add_f64 v[82:83], v[104:105], v[20:21]
	v_mul_f64 v[130:131], v[38:39], v[100:101]
	v_mul_f64 v[100:101], v[36:37], v[100:101]
	v_fma_f64 v[62:63], v[24:25], v[78:79], v[122:123]
	v_fma_f64 v[52:53], v[32:33], v[88:89], v[128:129]
	;; [unrolled: 1-line block ×4, first 2 shown]
	v_fma_f64 v[30:31], v[42:43], v[102:103], -v[134:135]
	v_add_f64 v[74:75], v[96:97], v[22:23]
	v_add_f64 v[84:85], v[94:95], -v[26:27]
	v_add_f64 v[128:129], v[96:97], -v[22:23]
	v_add_f64 v[78:79], v[94:95], v[26:27]
	v_mul_f64 v[132:133], v[90:91], s[8:9]
	v_mul_f64 v[136:137], v[82:83], s[6:7]
	v_fma_f64 v[32:33], v[36:37], v[98:99], v[130:131]
	v_fma_f64 v[34:35], v[38:39], v[98:99], -v[100:101]
	v_add_f64 v[44:45], v[92:93], v[24:25]
	v_add_f64 v[126:127], v[92:93], -v[24:25]
	v_add_f64 v[88:89], v[86:87], -v[30:31]
	v_add_f64 v[72:73], v[86:87], v[30:31]
	v_mul_f64 v[130:131], v[84:85], s[18:19]
	v_mul_f64 v[134:135], v[78:79], s[14:15]
	v_fma_f64 v[4:5], v[74:75], s[6:7], -v[132:133]
	v_fma_f64 v[6:7], v[128:129], s[8:9], v[136:137]
	v_add_f64 v[40:41], v[80:81], v[28:29]
	v_add_f64 v[124:125], v[80:81], -v[28:29]
	v_add_f64 v[98:99], v[76:77], -v[34:35]
	v_add_f64 v[46:47], v[76:77], v[34:35]
	v_mul_f64 v[114:115], v[88:89], s[22:23]
	v_mul_f64 v[138:139], v[72:73], s[16:17]
	v_fma_f64 v[8:9], v[44:45], s[14:15], -v[130:131]
	v_fma_f64 v[10:11], v[126:127], s[18:19], v[134:135]
	v_add_f64 v[4:5], v[0:1], v[4:5]
	v_add_f64 v[6:7], v[2:3], v[6:7]
	;; [unrolled: 1-line block ×3, first 2 shown]
	v_add_f64 v[108:109], v[70:71], -v[32:33]
	v_add_f64 v[102:103], v[68:69], -v[50:51]
	v_add_f64 v[48:49], v[68:69], v[50:51]
	v_mul_f64 v[116:117], v[98:99], s[36:37]
	v_mul_f64 v[140:141], v[46:47], s[24:25]
	v_fma_f64 v[12:13], v[40:41], s[16:17], -v[114:115]
	v_fma_f64 v[14:15], v[124:125], s[22:23], v[138:139]
	v_add_f64 v[4:5], v[8:9], v[4:5]
	v_add_f64 v[6:7], v[10:11], v[6:7]
	v_mul_f64 v[146:147], v[90:91], s[26:27]
	v_mul_f64 v[154:155], v[82:83], s[28:29]
	v_add_f64 v[36:37], v[66:67], v[52:53]
	v_add_f64 v[110:111], v[66:67], -v[52:53]
	v_mul_f64 v[112:113], v[102:103], s[40:41]
	v_mul_f64 v[142:143], v[48:49], s[28:29]
	v_fma_f64 v[8:9], v[38:39], s[24:25], -v[116:117]
	v_fma_f64 v[10:11], v[108:109], s[36:37], v[140:141]
	v_add_f64 v[4:5], v[12:13], v[4:5]
	v_add_f64 v[6:7], v[14:15], v[6:7]
	v_mul_f64 v[144:145], v[84:85], s[22:23]
	v_mul_f64 v[150:151], v[78:79], s[16:17]
	v_fma_f64 v[16:17], v[74:75], s[28:29], -v[146:147]
	v_fma_f64 v[18:19], v[128:129], s[26:27], v[154:155]
	v_fma_f64 v[12:13], v[36:37], s[28:29], -v[112:113]
	v_fma_f64 v[14:15], v[110:111], s[40:41], v[142:143]
	v_add_f64 v[4:5], v[8:9], v[4:5]
	v_add_f64 v[6:7], v[10:11], v[6:7]
	v_fma_f64 v[8:9], v[44:45], s[16:17], -v[144:145]
	v_fma_f64 v[10:11], v[126:127], s[22:23], v[150:151]
	v_add_f64 v[16:17], v[0:1], v[16:17]
	v_add_f64 v[18:19], v[2:3], v[18:19]
	v_mul_f64 v[148:149], v[88:89], s[44:45]
	v_mul_f64 v[152:153], v[72:73], s[14:15]
	;; [unrolled: 1-line block ×4, first 2 shown]
	v_add_f64 v[4:5], v[12:13], v[4:5]
	v_add_f64 v[6:7], v[14:15], v[6:7]
	v_add_f64 v[8:9], v[8:9], v[16:17]
	v_add_f64 v[10:11], v[10:11], v[18:19]
	v_fma_f64 v[12:13], v[40:41], s[14:15], -v[148:149]
	v_fma_f64 v[14:15], v[124:125], s[44:45], v[152:153]
	v_fma_f64 v[160:161], v[74:75], s[14:15], -v[182:183]
	v_mul_f64 v[184:185], v[84:85], s[36:37]
	v_fma_f64 v[162:163], v[128:129], s[18:19], v[188:189]
	v_mul_f64 v[190:191], v[78:79], s[24:25]
	v_mul_f64 v[158:159], v[46:47], s[30:31]
	;; [unrolled: 1-line block ×3, first 2 shown]
	v_add_f64 v[8:9], v[12:13], v[8:9]
	v_add_f64 v[10:11], v[14:15], v[10:11]
	;; [unrolled: 1-line block ×3, first 2 shown]
	v_fma_f64 v[14:15], v[44:45], s[24:25], -v[184:185]
	v_add_f64 v[164:165], v[2:3], v[162:163]
	v_fma_f64 v[166:167], v[126:127], s[36:37], v[190:191]
	v_mul_f64 v[186:187], v[72:73], s[30:31]
	v_mul_f64 v[156:157], v[98:99], s[34:35]
	v_fma_f64 v[170:171], v[108:109], s[34:35], v[158:159]
	v_mul_f64 v[172:173], v[46:47], s[28:29]
	v_add_f64 v[106:107], v[64:65], -v[60:61]
	v_add_f64 v[12:13], v[14:15], v[12:13]
	v_add_f64 v[100:101], v[64:65], v[60:61]
	;; [unrolled: 1-line block ×3, first 2 shown]
	v_fma_f64 v[166:167], v[40:41], s[30:31], -v[180:181]
	v_fma_f64 v[174:175], v[124:125], s[34:35], v[186:187]
	v_mul_f64 v[164:165], v[98:99], s[26:27]
	v_fma_f64 v[168:169], v[38:39], s[30:31], -v[156:157]
	v_mul_f64 v[160:161], v[102:103], s[8:9]
	v_mul_f64 v[162:163], v[48:49], s[6:7]
	v_add_f64 v[10:11], v[170:171], v[10:11]
	v_fma_f64 v[178:179], v[108:109], s[26:27], v[172:173]
	v_add_f64 v[12:13], v[166:167], v[12:13]
	v_add_f64 v[14:15], v[174:175], v[14:15]
	v_fma_f64 v[176:177], v[38:39], s[28:29], -v[164:165]
	v_mul_f64 v[170:171], v[102:103], s[48:49]
	v_mul_f64 v[174:175], v[48:49], s[16:17]
	v_add_f64 v[42:43], v[62:63], v[54:55]
	v_mul_f64 v[118:119], v[106:107], s[34:35]
	v_add_f64 v[122:123], v[62:63], -v[54:55]
	v_mul_f64 v[120:121], v[100:101], s[30:31]
	v_add_f64 v[8:9], v[168:169], v[8:9]
	v_fma_f64 v[198:199], v[36:37], s[6:7], -v[160:161]
	v_fma_f64 v[200:201], v[110:111], s[8:9], v[162:163]
	v_mul_f64 v[166:167], v[106:107], s[42:43]
	v_mul_f64 v[168:169], v[100:101], s[24:25]
	v_add_f64 v[12:13], v[176:177], v[12:13]
	v_add_f64 v[14:15], v[178:179], v[14:15]
	v_fma_f64 v[202:203], v[36:37], s[16:17], -v[170:171]
	v_fma_f64 v[204:205], v[110:111], s[48:49], v[174:175]
	v_mul_f64 v[176:177], v[106:107], s[46:47]
	v_mul_f64 v[178:179], v[100:101], s[6:7]
	v_fma_f64 v[16:17], v[42:43], s[30:31], -v[118:119]
	v_fma_f64 v[18:19], v[122:123], s[34:35], v[120:121]
	v_add_f64 v[8:9], v[198:199], v[8:9]
	v_add_f64 v[10:11], v[200:201], v[10:11]
	v_fma_f64 v[198:199], v[42:43], s[24:25], -v[166:167]
	v_fma_f64 v[200:201], v[122:123], s[42:43], v[168:169]
	v_add_f64 v[202:203], v[202:203], v[12:13]
	v_add_f64 v[204:205], v[204:205], v[14:15]
	v_fma_f64 v[206:207], v[42:43], s[6:7], -v[176:177]
	v_fma_f64 v[208:209], v[122:123], s[46:47], v[178:179]
	v_add_f64 v[12:13], v[16:17], v[4:5]
	v_add_f64 v[14:15], v[18:19], v[6:7]
	v_add_f64 v[8:9], v[198:199], v[8:9]
	v_add_f64 v[10:11], v[200:201], v[10:11]
	;; [unrolled: 1-line block ×4, first 2 shown]
	s_and_saveexec_b64 s[38:39], s[2:3]
	s_cbranch_execz .LBB0_21
; %bb.20:
	v_mul_f64 v[16:17], v[128:129], s[22:23]
	v_mul_f64 v[18:19], v[90:91], s[22:23]
	;; [unrolled: 1-line block ×8, first 2 shown]
	v_fma_f64 v[200:201], v[82:83], s[16:17], v[16:17]
	v_fma_f64 v[204:205], v[74:75], s[16:17], -v[18:19]
	v_fma_f64 v[224:225], v[78:79], s[30:31], v[198:199]
	v_fma_f64 v[228:229], v[44:45], s[30:31], -v[202:203]
	;; [unrolled: 2-line block ×3, first 2 shown]
	v_fma_f64 v[236:237], v[40:41], s[24:25], -v[226:227]
	v_fma_f64 v[238:239], v[46:47], s[6:7], v[230:231]
	v_add_f64 v[200:201], v[2:3], v[200:201]
	v_add_f64 v[204:205], v[0:1], v[204:205]
	v_fma_f64 v[198:199], v[78:79], s[30:31], -v[198:199]
	v_fma_f64 v[18:19], v[74:75], s[16:17], v[18:19]
	v_fma_f64 v[222:223], v[72:73], s[24:25], -v[222:223]
	v_add_f64 v[16:17], v[2:3], v[16:17]
	v_fma_f64 v[202:203], v[44:45], s[30:31], v[202:203]
	v_fma_f64 v[230:231], v[46:47], s[6:7], -v[230:231]
	v_add_f64 v[200:201], v[224:225], v[200:201]
	v_mul_f64 v[224:225], v[98:99], s[46:47]
	v_add_f64 v[204:205], v[228:229], v[204:205]
	v_mul_f64 v[228:229], v[122:123], s[40:41]
	v_add_f64 v[18:19], v[0:1], v[18:19]
	v_add_f64 v[16:17], v[198:199], v[16:17]
	v_fma_f64 v[226:227], v[40:41], s[24:25], v[226:227]
	v_mul_f64 v[244:245], v[88:89], s[8:9]
	v_add_f64 v[200:201], v[234:235], v[200:201]
	v_mul_f64 v[234:235], v[102:103], s[18:19]
	v_fma_f64 v[240:241], v[38:39], s[6:7], -v[224:225]
	v_add_f64 v[204:205], v[236:237], v[204:205]
	v_fma_f64 v[236:237], v[48:49], s[14:15], v[232:233]
	v_add_f64 v[16:17], v[222:223], v[16:17]
	v_add_f64 v[202:203], v[202:203], v[18:19]
	v_fma_f64 v[232:233], v[48:49], s[14:15], -v[232:233]
	v_add_f64 v[198:199], v[238:239], v[200:201]
	v_mul_f64 v[200:201], v[106:107], s[40:41]
	v_fma_f64 v[238:239], v[36:37], s[14:15], -v[234:235]
	v_add_f64 v[204:205], v[240:241], v[204:205]
	v_fma_f64 v[240:241], v[100:101], s[28:29], v[228:229]
	v_add_f64 v[230:231], v[230:231], v[16:17]
	v_add_f64 v[202:203], v[226:227], v[202:203]
	v_mul_f64 v[226:227], v[126:127], s[40:41]
	v_add_f64 v[198:199], v[236:237], v[198:199]
	v_fma_f64 v[222:223], v[42:43], s[28:29], -v[200:201]
	v_mul_f64 v[214:215], v[74:75], s[14:15]
	v_add_f64 v[204:205], v[238:239], v[204:205]
	v_mul_f64 v[238:239], v[128:129], s[42:43]
	v_mul_f64 v[216:217], v[128:129], s[18:19]
	;; [unrolled: 1-line block ×3, first 2 shown]
	v_fma_f64 v[242:243], v[78:79], s[28:29], v[226:227]
	v_add_f64 v[18:19], v[240:241], v[198:199]
	v_fma_f64 v[198:199], v[38:39], s[6:7], v[224:225]
	v_add_f64 v[224:225], v[232:233], v[230:231]
	v_add_f64 v[16:17], v[222:223], v[204:205]
	v_mul_f64 v[204:205], v[90:91], s[42:43]
	v_fma_f64 v[222:223], v[100:101], s[28:29], -v[228:229]
	v_fma_f64 v[228:229], v[82:83], s[24:25], v[238:239]
	v_fma_f64 v[230:231], v[36:37], s[14:15], v[234:235]
	v_mul_f64 v[232:233], v[84:85], s[40:41]
	v_add_f64 v[198:199], v[198:199], v[202:203]
	v_mul_f64 v[240:241], v[124:125], s[8:9]
	v_fma_f64 v[202:203], v[42:43], s[28:29], v[200:201]
	v_fma_f64 v[234:235], v[74:75], s[24:25], -v[204:205]
	v_add_f64 v[200:201], v[222:223], v[224:225]
	v_add_f64 v[228:229], v[2:3], v[228:229]
	v_mul_f64 v[222:223], v[108:109], s[48:49]
	v_fma_f64 v[246:247], v[44:45], s[28:29], -v[232:233]
	v_add_f64 v[198:199], v[230:231], v[198:199]
	v_fma_f64 v[224:225], v[72:73], s[6:7], v[240:241]
	v_mul_f64 v[230:231], v[98:99], s[48:49]
	v_add_f64 v[234:235], v[0:1], v[234:235]
	v_fma_f64 v[204:205], v[74:75], s[24:25], v[204:205]
	v_add_f64 v[228:229], v[242:243], v[228:229]
	v_fma_f64 v[242:243], v[40:41], s[6:7], -v[244:245]
	v_fma_f64 v[226:227], v[78:79], s[28:29], -v[226:227]
	v_add_f64 v[198:199], v[202:203], v[198:199]
	v_fma_f64 v[202:203], v[82:83], s[24:25], -v[238:239]
	v_fma_f64 v[238:239], v[46:47], s[16:17], v[222:223]
	v_add_f64 v[234:235], v[246:247], v[234:235]
	v_fma_f64 v[232:233], v[44:45], s[28:29], v[232:233]
	v_add_f64 v[224:225], v[224:225], v[228:229]
	v_fma_f64 v[228:229], v[38:39], s[16:17], -v[230:231]
	v_add_f64 v[204:205], v[0:1], v[204:205]
	v_fma_f64 v[240:241], v[72:73], s[6:7], -v[240:241]
	v_add_f64 v[202:203], v[2:3], v[202:203]
	v_fma_f64 v[244:245], v[40:41], s[6:7], v[244:245]
	v_add_f64 v[234:235], v[242:243], v[234:235]
	v_mul_f64 v[242:243], v[102:103], s[34:35]
	v_add_f64 v[224:225], v[238:239], v[224:225]
	v_mul_f64 v[238:239], v[106:107], s[18:19]
	;; [unrolled: 2-line block ×4, first 2 shown]
	v_add_f64 v[228:229], v[228:229], v[234:235]
	v_fma_f64 v[234:235], v[36:37], s[30:31], -v[242:243]
	v_mul_f64 v[254:255], v[126:127], s[36:37]
	v_add_f64 v[188:189], v[188:189], -v[216:217]
	v_add_f64 v[182:183], v[214:215], v[182:183]
	v_add_f64 v[104:105], v[2:3], v[104:105]
	v_add_f64 v[240:241], v[240:241], v[202:203]
	v_add_f64 v[96:97], v[0:1], v[96:97]
	v_mul_f64 v[236:237], v[44:45], s[16:17]
	v_add_f64 v[228:229], v[234:235], v[228:229]
	v_fma_f64 v[234:235], v[42:43], s[14:15], -v[238:239]
	v_mul_f64 v[226:227], v[126:127], s[22:23]
	v_fma_f64 v[222:223], v[46:47], s[16:17], -v[222:223]
	v_mul_f64 v[216:217], v[40:41], s[30:31]
	v_add_f64 v[190:191], v[190:191], -v[254:255]
	v_add_f64 v[188:189], v[2:3], v[188:189]
	v_add_f64 v[184:185], v[252:253], v[184:185]
	v_add_f64 v[154:155], v[154:155], -v[212:213]
	v_add_f64 v[202:203], v[234:235], v[228:229]
	v_fma_f64 v[228:229], v[38:39], s[16:17], v[230:231]
	v_add_f64 v[230:231], v[244:245], v[232:233]
	v_add_f64 v[182:183], v[0:1], v[182:183]
	;; [unrolled: 1-line block ×6, first 2 shown]
	v_mul_f64 v[240:241], v[40:41], s[14:15]
	v_mul_f64 v[244:245], v[124:125], s[44:45]
	v_add_f64 v[228:229], v[228:229], v[230:231]
	v_mul_f64 v[230:231], v[124:125], s[34:35]
	v_fma_f64 v[242:243], v[36:37], s[30:31], v[242:243]
	v_add_f64 v[188:189], v[190:191], v[188:189]
	v_mul_f64 v[190:191], v[108:109], s[26:27]
	v_add_f64 v[180:181], v[216:217], v[180:181]
	v_add_f64 v[150:151], v[150:151], -v[226:227]
	v_add_f64 v[154:155], v[2:3], v[154:155]
	v_add_f64 v[182:183], v[184:185], v[182:183]
	v_add_f64 v[186:187], v[186:187], -v[230:231]
	v_mul_f64 v[230:231], v[38:39], s[28:29]
	v_add_f64 v[144:145], v[236:237], v[144:145]
	v_add_f64 v[146:147], v[0:1], v[146:147]
	;; [unrolled: 1-line block ×4, first 2 shown]
	v_mul_f64 v[214:215], v[38:39], s[30:31]
	v_add_f64 v[228:229], v[242:243], v[228:229]
	v_mul_f64 v[242:243], v[108:109], s[34:35]
	v_mul_f64 v[226:227], v[36:37], s[16:17]
	;; [unrolled: 1-line block ×3, first 2 shown]
	v_add_f64 v[152:153], v[152:153], -v[244:245]
	v_add_f64 v[150:151], v[150:151], v[154:155]
	v_add_f64 v[148:149], v[240:241], v[148:149]
	v_add_f64 v[144:145], v[144:145], v[146:147]
	v_add_f64 v[172:173], v[172:173], -v[190:191]
	v_add_f64 v[186:187], v[186:187], v[188:189]
	v_add_f64 v[164:165], v[230:231], v[164:165]
	;; [unrolled: 1-line block ×5, first 2 shown]
	v_mul_f64 v[248:249], v[110:111], s[34:35]
	v_mul_f64 v[216:217], v[36:37], s[6:7]
	v_mul_f64 v[210:211], v[110:111], s[8:9]
	v_mul_f64 v[146:147], v[42:43], s[6:7]
	v_mul_f64 v[190:191], v[122:123], s[46:47]
	v_add_f64 v[158:159], v[158:159], -v[242:243]
	v_add_f64 v[150:151], v[152:153], v[150:151]
	v_add_f64 v[152:153], v[214:215], v[156:157]
	;; [unrolled: 1-line block ×3, first 2 shown]
	v_add_f64 v[148:149], v[174:175], -v[184:185]
	v_add_f64 v[156:157], v[172:173], v[186:187]
	v_add_f64 v[170:171], v[226:227], v[170:171]
	;; [unrolled: 1-line block ×3, first 2 shown]
	v_mul_f64 v[244:245], v[122:123], s[34:35]
	s_mov_b32 s35, 0xbfddbe06
	v_add_f64 v[68:69], v[76:77], v[68:69]
	v_add_f64 v[66:67], v[70:71], v[66:67]
	v_mul_f64 v[206:207], v[74:75], s[6:7]
	v_mul_f64 v[208:209], v[128:129], s[8:9]
	;; [unrolled: 1-line block ×3, first 2 shown]
	v_fma_f64 v[250:251], v[48:49], s[30:31], v[248:249]
	v_mul_f64 v[154:155], v[42:43], s[24:25]
	v_add_f64 v[162:163], v[162:163], -v[210:211]
	v_add_f64 v[150:151], v[158:159], v[150:151]
	v_add_f64 v[158:159], v[216:217], v[160:161]
	;; [unrolled: 1-line block ×3, first 2 shown]
	v_add_f64 v[152:153], v[178:179], -v[190:191]
	v_add_f64 v[148:149], v[148:149], v[156:157]
	v_add_f64 v[156:157], v[146:147], v[176:177]
	;; [unrolled: 1-line block ×3, first 2 shown]
	v_mul_f64 v[128:129], v[128:129], s[34:35]
	v_mul_f64 v[70:71], v[90:91], s[34:35]
	v_add_f64 v[64:65], v[68:69], v[64:65]
	v_add_f64 v[62:63], v[66:67], v[62:63]
	v_mul_f64 v[218:219], v[44:45], s[14:15]
	v_mul_f64 v[220:221], v[126:127], s[18:19]
	v_add_f64 v[224:225], v[250:251], v[224:225]
	v_fma_f64 v[250:251], v[100:101], s[14:15], v[246:247]
	v_add_f64 v[162:163], v[162:163], v[150:151]
	v_add_f64 v[166:167], v[154:155], v[166:167]
	;; [unrolled: 1-line block ×5, first 2 shown]
	v_add_f64 v[136:137], v[136:137], -v[208:209]
	v_add_f64 v[132:133], v[206:207], v[132:133]
	v_mul_f64 v[126:127], v[126:127], s[8:9]
	v_fma_f64 v[156:157], v[82:83], s[30:31], v[128:129]
	v_fma_f64 v[82:83], v[82:83], s[30:31], -v[128:129]
	v_mul_f64 v[84:85], v[84:85], s[8:9]
	v_fma_f64 v[66:67], v[74:75], s[30:31], v[70:71]
	v_fma_f64 v[70:71], v[74:75], s[30:31], -v[70:71]
	v_add_f64 v[60:61], v[64:65], v[60:61]
	v_add_f64 v[54:55], v[62:63], v[54:55]
	;; [unrolled: 1-line block ×3, first 2 shown]
	v_mul_f64 v[224:225], v[40:41], s[16:17]
	v_mul_f64 v[232:233], v[124:125], s[22:23]
	v_fma_f64 v[234:235], v[48:49], s[30:31], -v[248:249]
	v_add_f64 v[152:153], v[166:167], v[158:159]
	v_add_f64 v[134:135], v[134:135], -v[220:221]
	v_add_f64 v[136:137], v[2:3], v[136:137]
	v_add_f64 v[130:131], v[218:219], v[130:131]
	;; [unrolled: 1-line block ×3, first 2 shown]
	v_mul_f64 v[124:125], v[124:125], s[26:27]
	v_fma_f64 v[158:159], v[78:79], s[6:7], v[126:127]
	v_add_f64 v[156:157], v[2:3], v[156:157]
	v_mul_f64 v[68:69], v[88:89], s[26:27]
	v_fma_f64 v[74:75], v[78:79], s[6:7], -v[126:127]
	v_add_f64 v[2:3], v[2:3], v[82:83]
	v_fma_f64 v[78:79], v[44:45], s[6:7], v[84:85]
	v_add_f64 v[62:63], v[0:1], v[66:67]
	v_fma_f64 v[44:45], v[44:45], s[6:7], -v[84:85]
	v_add_f64 v[0:1], v[0:1], v[70:71]
	v_add_f64 v[50:51], v[60:61], v[50:51]
	;; [unrolled: 1-line block ×4, first 2 shown]
	v_mul_f64 v[234:235], v[38:39], s[24:25]
	v_mul_f64 v[248:249], v[108:109], s[36:37]
	v_add_f64 v[138:139], v[138:139], -v[232:233]
	v_add_f64 v[134:135], v[134:135], v[136:137]
	v_add_f64 v[114:115], v[224:225], v[114:115]
	;; [unrolled: 1-line block ×3, first 2 shown]
	v_mul_f64 v[108:109], v[108:109], s[18:19]
	v_mul_f64 v[98:99], v[98:99], s[18:19]
	v_fma_f64 v[64:65], v[72:73], s[28:29], -v[124:125]
	v_add_f64 v[2:3], v[74:75], v[2:3]
	v_fma_f64 v[66:67], v[40:41], s[28:29], v[68:69]
	v_add_f64 v[54:55], v[78:79], v[62:63]
	v_fma_f64 v[132:133], v[72:73], s[28:29], v[124:125]
	v_add_f64 v[136:137], v[158:159], v[156:157]
	v_fma_f64 v[40:41], v[40:41], s[28:29], -v[68:69]
	v_add_f64 v[0:1], v[44:45], v[0:1]
	v_add_f64 v[34:35], v[50:51], v[34:35]
	;; [unrolled: 1-line block ×3, first 2 shown]
	v_mul_f64 v[212:213], v[110:111], s[40:41]
	v_add_f64 v[140:141], v[140:141], -v[248:249]
	v_add_f64 v[96:97], v[138:139], v[134:135]
	v_add_f64 v[104:105], v[234:235], v[116:117]
	;; [unrolled: 1-line block ×3, first 2 shown]
	v_mul_f64 v[110:111], v[110:111], s[42:43]
	v_fma_f64 v[116:117], v[46:47], s[14:15], v[108:109]
	v_mul_f64 v[90:91], v[102:103], s[42:43]
	v_fma_f64 v[44:45], v[46:47], s[14:15], -v[108:109]
	v_add_f64 v[2:3], v[64:65], v[2:3]
	v_fma_f64 v[46:47], v[38:39], s[14:15], v[98:99]
	v_add_f64 v[50:51], v[66:67], v[54:55]
	v_mul_f64 v[250:251], v[36:37], s[28:29]
	v_add_f64 v[130:131], v[132:133], v[136:137]
	v_fma_f64 v[38:39], v[38:39], s[14:15], -v[98:99]
	v_add_f64 v[0:1], v[40:41], v[0:1]
	v_add_f64 v[30:31], v[34:35], v[30:31]
	;; [unrolled: 1-line block ×5, first 2 shown]
	v_mul_f64 v[104:105], v[122:123], s[22:23]
	v_mul_f64 v[76:77], v[106:107], s[22:23]
	v_fma_f64 v[40:41], v[48:49], s[24:25], -v[110:111]
	v_add_f64 v[2:3], v[44:45], v[2:3]
	v_fma_f64 v[44:45], v[36:37], s[24:25], v[90:91]
	v_add_f64 v[32:33], v[46:47], v[50:51]
	v_mul_f64 v[236:237], v[42:43], s[30:31]
	v_add_f64 v[142:143], v[142:143], -v[212:213]
	v_add_f64 v[94:95], v[250:251], v[112:113]
	v_mul_f64 v[240:241], v[122:123], s[42:43]
	v_fma_f64 v[112:113], v[48:49], s[24:25], v[110:111]
	v_add_f64 v[114:115], v[116:117], v[130:131]
	v_fma_f64 v[34:35], v[36:37], s[24:25], -v[90:91]
	v_add_f64 v[0:1], v[38:39], v[0:1]
	v_add_f64 v[26:27], v[30:31], v[26:27]
	;; [unrolled: 1-line block ×3, first 2 shown]
	v_fma_f64 v[36:37], v[100:101], s[16:17], -v[104:105]
	v_add_f64 v[38:39], v[40:41], v[2:3]
	v_fma_f64 v[40:41], v[42:43], s[16:17], v[76:77]
	v_add_f64 v[32:33], v[44:45], v[32:33]
	v_add_f64 v[80:81], v[120:121], -v[244:245]
	v_add_f64 v[86:87], v[142:143], v[92:93]
	v_add_f64 v[92:93], v[236:237], v[118:119]
	v_add_f64 v[94:95], v[94:95], v[96:97]
	v_add_f64 v[164:165], v[168:169], -v[240:241]
	v_fma_f64 v[246:247], v[100:101], s[14:15], -v[246:247]
	v_fma_f64 v[238:239], v[42:43], s[14:15], v[238:239]
	v_fma_f64 v[96:97], v[100:101], s[16:17], v[104:105]
	v_add_f64 v[112:113], v[112:113], v[114:115]
	v_fma_f64 v[42:43], v[42:43], s[16:17], -v[76:77]
	v_add_f64 v[34:35], v[34:35], v[0:1]
	v_add_f64 v[28:29], v[26:27], v[20:21]
	;; [unrolled: 1-line block ×10, first 2 shown]
	v_mov_b32_e32 v21, 4
	v_mul_u32_u24_e32 v20, 0x270, v196
	v_lshlrev_b32_sdwa v21, v21, v197 dst_sel:DWORD dst_unused:UNUSED_PAD src0_sel:DWORD src1_sel:BYTE_0
	v_add3_u32 v20, 0, v20, v21
	v_add_f64 v[32:33], v[96:97], v[112:113]
	v_add_f64 v[30:31], v[42:43], v[34:35]
	ds_write_b128 v20, v[26:29]
	ds_write_b128 v20, v[22:25] offset:48
	ds_write_b128 v20, v[0:3] offset:96
	;; [unrolled: 1-line block ×12, first 2 shown]
.LBB0_21:
	s_or_b64 exec, exec, s[38:39]
	v_lshl_add_u32 v48, v193, 4, 0
	v_lshl_add_u32 v50, v195, 4, 0
	s_waitcnt lgkmcnt(0)
	s_barrier
	ds_read_b128 v[0:3], v48
	ds_read_b128 v[24:27], v48 offset:6864
	v_lshl_add_u32 v49, v194, 4, 0
	ds_read_b128 v[32:35], v48 offset:13728
	ds_read_b128 v[28:31], v48 offset:15600
	ds_read_b128 v[20:23], v50
	ds_read_b128 v[36:39], v48 offset:8736
	ds_read_b128 v[40:43], v48 offset:10608
	ds_read_b128 v[16:19], v49
	ds_read_b128 v[44:47], v48 offset:17472
	s_and_saveexec_b64 s[2:3], s[0:1]
	s_cbranch_execz .LBB0_23
; %bb.22:
	ds_read_b128 v[4:7], v48 offset:5616
	ds_read_b128 v[8:11], v48 offset:12480
	;; [unrolled: 1-line block ×3, first 2 shown]
.LBB0_23:
	s_or_b64 exec, exec, s[2:3]
	s_movk_i32 s2, 0xa5
	v_mul_lo_u16_sdwa v51, v193, s2 dst_sel:DWORD dst_unused:UNUSED_PAD src0_sel:BYTE_0 src1_sel:DWORD
	v_sub_u16_sdwa v52, v193, v51 dst_sel:DWORD dst_unused:UNUSED_PAD src0_sel:DWORD src1_sel:BYTE_1
	v_lshrrev_b16_e32 v52, 1, v52
	v_and_b32_e32 v52, 0x7f, v52
	v_add_u16_sdwa v51, v52, v51 dst_sel:DWORD dst_unused:UNUSED_PAD src0_sel:DWORD src1_sel:BYTE_1
	v_lshrrev_b16_e32 v51, 5, v51
	v_and_b32_e32 v55, 7, v51
	v_mul_lo_u16_e32 v51, 39, v55
	v_sub_u16_e32 v80, v193, v51
	v_mov_b32_e32 v72, 5
	v_lshlrev_b32_sdwa v64, v72, v80 dst_sel:DWORD dst_unused:UNUSED_PAD src0_sel:DWORD src1_sel:BYTE_0
	v_mul_lo_u16_sdwa v73, v194, s2 dst_sel:DWORD dst_unused:UNUSED_PAD src0_sel:BYTE_0 src1_sel:DWORD
	global_load_dwordx4 v[51:54], v64, s[12:13] offset:592
	global_load_dwordx4 v[60:63], v64, s[12:13] offset:576
	v_sub_u16_sdwa v64, v194, v73 dst_sel:DWORD dst_unused:UNUSED_PAD src0_sel:DWORD src1_sel:BYTE_1
	s_mov_b32 s14, 0xa41b
	v_lshrrev_b16_e32 v74, 1, v64
	v_mul_u32_u24_sdwa v64, v195, s14 dst_sel:DWORD dst_unused:UNUSED_PAD src0_sel:WORD_0 src1_sel:DWORD
	v_sub_u16_sdwa v65, v195, v64 dst_sel:DWORD dst_unused:UNUSED_PAD src0_sel:DWORD src1_sel:WORD_1
	v_lshrrev_b16_e32 v65, 1, v65
	v_add_u16_sdwa v64, v65, v64 dst_sel:DWORD dst_unused:UNUSED_PAD src0_sel:DWORD src1_sel:WORD_1
	v_lshrrev_b16_e32 v81, 5, v64
	v_and_b32_e32 v74, 0x7f, v74
	v_mul_lo_u16_e32 v64, 39, v81
	v_add_u16_sdwa v73, v74, v73 dst_sel:DWORD dst_unused:UNUSED_PAD src0_sel:DWORD src1_sel:BYTE_1
	v_sub_u16_e32 v82, v195, v64
	v_lshrrev_b16_e32 v73, 5, v73
	v_lshlrev_b32_e32 v75, 5, v82
	v_and_b32_e32 v83, 7, v73
	global_load_dwordx4 v[64:67], v75, s[12:13] offset:592
	global_load_dwordx4 v[68:71], v75, s[12:13] offset:576
	v_mul_lo_u16_e32 v73, 39, v83
	v_sub_u16_e32 v84, v194, v73
	v_lshlrev_b32_sdwa v85, v72, v84 dst_sel:DWORD dst_unused:UNUSED_PAD src0_sel:DWORD src1_sel:BYTE_0
	global_load_dwordx4 v[72:75], v85, s[12:13] offset:576
	global_load_dwordx4 v[76:79], v85, s[12:13] offset:592
	s_movk_i32 s8, 0x750
	v_mov_b32_e32 v85, 4
	v_mul_u32_u24_e32 v81, 0x750, v81
	v_lshlrev_b32_e32 v82, 4, v82
	v_mul_u32_u24_sdwa v55, v55, s8 dst_sel:DWORD dst_unused:UNUSED_PAD src0_sel:WORD_0 src1_sel:DWORD
	v_mul_u32_u24_sdwa v83, v83, s8 dst_sel:DWORD dst_unused:UNUSED_PAD src0_sel:WORD_0 src1_sel:DWORD
	v_add3_u32 v92, 0, v81, v82
	v_lshlrev_b32_sdwa v80, v85, v80 dst_sel:DWORD dst_unused:UNUSED_PAD src0_sel:DWORD src1_sel:BYTE_0
	v_lshlrev_b32_sdwa v81, v85, v84 dst_sel:DWORD dst_unused:UNUSED_PAD src0_sel:DWORD src1_sel:BYTE_0
	v_add3_u32 v55, 0, v55, v80
	v_add3_u32 v93, 0, v83, v81
	s_mov_b32 s2, 0xe8584caa
	s_mov_b32 s3, 0xbfebb67a
	;; [unrolled: 1-line block ×4, first 2 shown]
	s_waitcnt vmcnt(0) lgkmcnt(0)
	s_barrier
	v_mul_f64 v[86:87], v[34:35], v[53:54]
	v_mul_f64 v[84:85], v[26:27], v[62:63]
	;; [unrolled: 1-line block ×4, first 2 shown]
	v_fma_f64 v[32:33], v[32:33], v[51:52], v[86:87]
	v_fma_f64 v[24:25], v[24:25], v[60:61], v[84:85]
	v_fma_f64 v[26:27], v[26:27], v[60:61], -v[62:63]
	v_fma_f64 v[34:35], v[34:35], v[51:52], -v[53:54]
	v_mul_f64 v[82:83], v[46:47], v[66:67]
	v_mul_f64 v[80:81], v[42:43], v[70:71]
	;; [unrolled: 1-line block ×8, first 2 shown]
	v_fma_f64 v[44:45], v[44:45], v[64:65], v[82:83]
	v_fma_f64 v[40:41], v[40:41], v[68:69], v[80:81]
	v_fma_f64 v[42:43], v[42:43], v[68:69], -v[70:71]
	v_fma_f64 v[46:47], v[46:47], v[64:65], -v[66:67]
	v_fma_f64 v[36:37], v[36:37], v[72:73], v[88:89]
	v_fma_f64 v[38:39], v[38:39], v[72:73], -v[74:75]
	v_fma_f64 v[28:29], v[28:29], v[76:77], v[90:91]
	v_fma_f64 v[30:31], v[30:31], v[76:77], -v[78:79]
	v_add_f64 v[66:67], v[24:25], v[32:33]
	v_add_f64 v[51:52], v[20:21], v[40:41]
	;; [unrolled: 1-line block ×3, first 2 shown]
	v_add_f64 v[60:61], v[42:43], -v[46:47]
	v_add_f64 v[62:63], v[22:23], v[42:43]
	v_add_f64 v[42:43], v[42:43], v[46:47]
	v_add_f64 v[64:65], v[40:41], -v[44:45]
	v_add_f64 v[40:41], v[0:1], v[24:25]
	v_add_f64 v[72:73], v[26:27], v[34:35]
	;; [unrolled: 1-line block ×3, first 2 shown]
	v_add_f64 v[80:81], v[38:39], -v[30:31]
	v_add_f64 v[82:83], v[18:19], v[38:39]
	v_add_f64 v[38:39], v[38:39], v[30:31]
	;; [unrolled: 1-line block ×3, first 2 shown]
	v_add_f64 v[68:69], v[26:27], -v[34:35]
	v_add_f64 v[74:75], v[24:25], -v[32:33]
	v_add_f64 v[76:77], v[16:17], v[36:37]
	v_add_f64 v[84:85], v[36:37], -v[28:29]
	v_add_f64 v[24:25], v[51:52], v[44:45]
	v_fma_f64 v[36:37], v[53:54], -0.5, v[20:21]
	v_fma_f64 v[51:52], v[42:43], -0.5, v[22:23]
	v_add_f64 v[20:21], v[40:41], v[32:33]
	v_fma_f64 v[40:41], v[66:67], -0.5, v[0:1]
	v_fma_f64 v[42:43], v[72:73], -0.5, v[2:3]
	;; [unrolled: 1-line block ×4, first 2 shown]
	v_add_f64 v[22:23], v[70:71], v[34:35]
	v_add_f64 v[0:1], v[76:77], v[28:29]
	v_fma_f64 v[16:17], v[60:61], s[2:3], v[36:37]
	v_fma_f64 v[28:29], v[60:61], s[6:7], v[36:37]
	v_fma_f64 v[32:33], v[68:69], s[2:3], v[40:41]
	v_fma_f64 v[34:35], v[74:75], s[6:7], v[42:43]
	v_fma_f64 v[36:37], v[68:69], s[6:7], v[40:41]
	v_fma_f64 v[38:39], v[74:75], s[2:3], v[42:43]
	v_add_f64 v[2:3], v[82:83], v[30:31]
	v_fma_f64 v[40:41], v[80:81], s[2:3], v[44:45]
	v_fma_f64 v[42:43], v[84:85], s[6:7], v[18:19]
	v_add_f64 v[26:27], v[62:63], v[46:47]
	v_fma_f64 v[44:45], v[80:81], s[6:7], v[44:45]
	v_fma_f64 v[46:47], v[84:85], s[2:3], v[18:19]
	v_fma_f64 v[18:19], v[64:65], s[6:7], v[51:52]
	v_fma_f64 v[30:31], v[64:65], s[2:3], v[51:52]
	ds_write_b128 v55, v[20:23]
	ds_write_b128 v55, v[32:35] offset:624
	ds_write_b128 v55, v[36:39] offset:1248
	ds_write_b128 v93, v[0:3]
	ds_write_b128 v93, v[40:43] offset:624
	ds_write_b128 v93, v[44:47] offset:1248
	;; [unrolled: 3-line block ×3, first 2 shown]
	s_and_saveexec_b64 s[8:9], s[0:1]
	s_cbranch_execz .LBB0_25
; %bb.24:
	v_add_u32_e32 v0, 0x15f, v193
	v_mul_u32_u24_sdwa v1, v0, s14 dst_sel:DWORD dst_unused:UNUSED_PAD src0_sel:WORD_0 src1_sel:DWORD
	v_sub_u16_sdwa v2, v0, v1 dst_sel:DWORD dst_unused:UNUSED_PAD src0_sel:DWORD src1_sel:WORD_1
	v_lshrrev_b16_e32 v2, 1, v2
	v_add_u16_sdwa v1, v2, v1 dst_sel:DWORD dst_unused:UNUSED_PAD src0_sel:DWORD src1_sel:WORD_1
	v_lshrrev_b16_e32 v24, 5, v1
	v_mul_lo_u16_e32 v1, 39, v24
	v_sub_u16_e32 v25, v0, v1
	v_lshlrev_b32_e32 v20, 5, v25
	global_load_dwordx4 v[0:3], v20, s[12:13] offset:576
	global_load_dwordx4 v[16:19], v20, s[12:13] offset:592
	s_waitcnt vmcnt(1)
	v_mul_f64 v[20:21], v[8:9], v[2:3]
	s_waitcnt vmcnt(0)
	v_mul_f64 v[22:23], v[12:13], v[18:19]
	v_mul_f64 v[2:3], v[10:11], v[2:3]
	;; [unrolled: 1-line block ×3, first 2 shown]
	v_fma_f64 v[10:11], v[10:11], v[0:1], -v[20:21]
	v_fma_f64 v[14:15], v[14:15], v[16:17], -v[22:23]
	v_fma_f64 v[0:1], v[8:9], v[0:1], v[2:3]
	v_fma_f64 v[8:9], v[12:13], v[16:17], v[18:19]
	v_add_f64 v[18:19], v[6:7], v[10:11]
	v_add_f64 v[2:3], v[10:11], v[14:15]
	v_add_f64 v[22:23], v[10:11], -v[14:15]
	v_add_f64 v[12:13], v[0:1], v[8:9]
	v_add_f64 v[16:17], v[0:1], -v[8:9]
	v_add_f64 v[0:1], v[4:5], v[0:1]
	v_fma_f64 v[20:21], v[2:3], -0.5, v[6:7]
	v_add_f64 v[2:3], v[18:19], v[14:15]
	v_fma_f64 v[4:5], v[12:13], -0.5, v[4:5]
	v_mul_lo_u16_e32 v12, 0x75, v24
	v_add_f64 v[0:1], v[0:1], v[8:9]
	v_lshlrev_b32_e32 v12, 4, v12
	v_lshlrev_b32_e32 v13, 4, v25
	v_add3_u32 v12, 0, v13, v12
	v_fma_f64 v[10:11], v[16:17], s[6:7], v[20:21]
	v_fma_f64 v[6:7], v[16:17], s[2:3], v[20:21]
	v_fma_f64 v[8:9], v[22:23], s[2:3], v[4:5]
	v_fma_f64 v[4:5], v[22:23], s[6:7], v[4:5]
	ds_write_b128 v12, v[0:3]
	ds_write_b128 v12, v[8:11] offset:624
	ds_write_b128 v12, v[4:7] offset:1248
.LBB0_25:
	s_or_b64 exec, exec, s[8:9]
	s_waitcnt lgkmcnt(0)
	s_barrier
	s_and_saveexec_b64 s[0:1], vcc
	s_cbranch_execz .LBB0_27
; %bb.26:
	v_mul_u32_u24_e32 v0, 10, v193
	v_lshlrev_b32_e32 v0, 4, v0
	global_load_dwordx4 v[4:7], v0, s[12:13] offset:1888
	global_load_dwordx4 v[8:11], v0, s[12:13] offset:1904
	;; [unrolled: 1-line block ×10, first 2 shown]
	v_mul_lo_u32 v55, s5, v58
	v_mul_lo_u32 v90, s4, v59
	v_mad_u64_u32 v[16:17], s[0:1], s4, v58, 0
	ds_read_b128 v[51:54], v48 offset:9360
	ds_read_b128 v[58:61], v48 offset:7488
	;; [unrolled: 1-line block ×4, first 2 shown]
	ds_read_b128 v[70:73], v50
	ds_read_b128 v[74:77], v48 offset:14976
	ds_read_b128 v[78:81], v48 offset:16848
	;; [unrolled: 1-line block ×3, first 2 shown]
	ds_read_b128 v[0:3], v48
	ds_read_b128 v[86:89], v49
	ds_read_b128 v[46:49], v48 offset:18720
	v_add3_u32 v17, v17, v90, v55
	s_mov_b32 s18, 0xfd768dbf
	s_mov_b32 s19, 0xbfd207e7
	;; [unrolled: 1-line block ×26, first 2 shown]
	v_lshlrev_b64 v[16:17], 4, v[16:17]
	s_waitcnt vmcnt(9) lgkmcnt(10)
	v_mul_f64 v[90:91], v[6:7], v[53:54]
	s_waitcnt vmcnt(8) lgkmcnt(8)
	v_mul_f64 v[92:93], v[10:11], v[64:65]
	v_mul_f64 v[6:7], v[51:52], v[6:7]
	;; [unrolled: 1-line block ×3, first 2 shown]
	s_waitcnt vmcnt(6) lgkmcnt(7)
	v_mul_f64 v[96:97], v[20:21], v[68:69]
	v_mul_f64 v[20:21], v[66:67], v[20:21]
	s_waitcnt vmcnt(5) lgkmcnt(3)
	v_mul_f64 v[98:99], v[24:25], v[84:85]
	s_waitcnt vmcnt(2)
	v_mul_f64 v[104:105], v[36:37], v[80:81]
	v_mul_f64 v[36:37], v[78:79], v[36:37]
	s_waitcnt vmcnt(1) lgkmcnt(1)
	v_mul_f64 v[106:107], v[40:41], v[88:89]
	s_waitcnt vmcnt(0) lgkmcnt(0)
	v_mul_f64 v[108:109], v[44:45], v[48:49]
	v_mul_f64 v[24:25], v[82:83], v[24:25]
	;; [unrolled: 1-line block ×5, first 2 shown]
	v_fma_f64 v[50:51], v[4:5], v[51:52], v[90:91]
	v_fma_f64 v[52:53], v[4:5], v[53:54], -v[6:7]
	v_fma_f64 v[54:55], v[8:9], v[64:65], -v[10:11]
	v_fma_f64 v[64:65], v[18:19], v[66:67], v[96:97]
	v_fma_f64 v[66:67], v[18:19], v[68:69], -v[20:21]
	v_fma_f64 v[20:21], v[34:35], v[78:79], v[104:105]
	;; [unrolled: 2-line block ×3, first 2 shown]
	v_fma_f64 v[18:19], v[42:43], v[46:47], v[108:109]
	v_mul_f64 v[100:101], v[28:29], v[76:77]
	v_mul_f64 v[32:33], v[70:71], v[32:33]
	v_fma_f64 v[68:69], v[22:23], v[82:83], v[98:99]
	v_fma_f64 v[82:83], v[22:23], v[84:85], -v[24:25]
	v_fma_f64 v[70:71], v[30:31], v[70:71], v[102:103]
	v_fma_f64 v[38:39], v[38:39], v[88:89], -v[40:41]
	v_fma_f64 v[22:23], v[42:43], v[48:49], -v[44:45]
	v_add_f64 v[88:89], v[36:37], -v[18:19]
	v_mul_f64 v[94:95], v[14:15], v[60:61]
	v_mul_f64 v[14:15], v[58:59], v[14:15]
	;; [unrolled: 1-line block ×3, first 2 shown]
	v_fma_f64 v[74:75], v[26:27], v[74:75], v[100:101]
	v_fma_f64 v[72:73], v[30:31], v[72:73], -v[32:33]
	v_add_f64 v[84:85], v[70:71], -v[20:21]
	v_add_f64 v[90:91], v[38:39], v[22:23]
	v_mul_f64 v[4:5], v[88:89], s[18:19]
	v_fma_f64 v[58:59], v[12:13], v[58:59], v[94:95]
	v_fma_f64 v[60:61], v[12:13], v[60:61], -v[14:15]
	v_fma_f64 v[76:77], v[26:27], v[76:77], -v[28:29]
	v_add_f64 v[46:47], v[68:69], -v[74:75]
	v_add_f64 v[86:87], v[72:73], v[78:79]
	v_add_f64 v[100:101], v[38:39], -v[22:23]
	v_mul_f64 v[6:7], v[84:85], s[22:23]
	v_fma_f64 v[12:13], v[90:91], s[16:17], v[4:5]
	v_fma_f64 v[4:5], v[90:91], s[16:17], -v[4:5]
	v_fma_f64 v[62:63], v[8:9], v[62:63], v[92:93]
	v_add_f64 v[42:43], v[58:59], -v[64:65]
	v_add_f64 v[80:81], v[82:83], v[76:77]
	v_add_f64 v[108:109], v[72:73], -v[78:79]
	v_add_f64 v[110:111], v[36:37], v[18:19]
	v_mul_f64 v[8:9], v[100:101], s[18:19]
	v_mul_f64 v[24:25], v[46:47], s[8:9]
	v_fma_f64 v[30:31], v[86:87], s[14:15], v[6:7]
	v_add_f64 v[12:13], v[2:3], v[12:13]
	v_fma_f64 v[6:7], v[86:87], s[14:15], -v[6:7]
	v_add_f64 v[4:5], v[2:3], v[4:5]
	v_add_f64 v[40:41], v[50:51], -v[62:63]
	v_add_f64 v[48:49], v[60:61], v[66:67]
	v_add_f64 v[104:105], v[82:83], -v[76:77]
	v_add_f64 v[106:107], v[70:71], v[20:21]
	v_mul_f64 v[14:15], v[42:43], s[12:13]
	v_mul_f64 v[28:29], v[108:109], s[22:23]
	v_fma_f64 v[32:33], v[110:111], s[16:17], -v[8:9]
	v_fma_f64 v[114:115], v[80:81], s[2:3], v[24:25]
	v_add_f64 v[12:13], v[30:31], v[12:13]
	v_fma_f64 v[24:25], v[80:81], s[2:3], -v[24:25]
	v_add_f64 v[4:5], v[6:7], v[4:5]
	v_add_f64 v[44:45], v[52:53], v[54:55]
	v_add_f64 v[98:99], v[60:61], -v[66:67]
	v_add_f64 v[102:103], v[68:69], v[74:75]
	v_mul_f64 v[10:11], v[40:41], s[4:5]
	v_mul_f64 v[112:113], v[104:105], s[8:9]
	v_fma_f64 v[116:117], v[106:107], s[14:15], -v[28:29]
	v_add_f64 v[32:33], v[0:1], v[32:33]
	v_mul_f64 v[118:119], v[88:89], s[8:9]
	v_fma_f64 v[120:121], v[48:49], s[6:7], v[14:15]
	v_add_f64 v[6:7], v[114:115], v[12:13]
	v_fma_f64 v[14:15], v[48:49], s[6:7], -v[14:15]
	v_add_f64 v[4:5], v[24:25], v[4:5]
	v_fma_f64 v[8:9], v[110:111], s[16:17], v[8:9]
	v_add_f64 v[96:97], v[58:59], v[64:65]
	v_mul_f64 v[34:35], v[98:99], s[12:13]
	v_mul_f64 v[30:31], v[84:85], s[26:27]
	v_fma_f64 v[122:123], v[102:103], s[2:3], -v[112:113]
	v_add_f64 v[32:33], v[116:117], v[32:33]
	v_mul_f64 v[12:13], v[100:101], s[8:9]
	v_fma_f64 v[114:115], v[44:45], s[0:1], v[10:11]
	v_add_f64 v[6:7], v[120:121], v[6:7]
	v_fma_f64 v[24:25], v[102:103], s[2:3], v[112:113]
	v_fma_f64 v[28:29], v[106:107], s[14:15], v[28:29]
	;; [unrolled: 1-line block ×3, first 2 shown]
	v_add_f64 v[14:15], v[14:15], v[4:5]
	v_add_f64 v[4:5], v[0:1], v[8:9]
	v_add_f64 v[94:95], v[52:53], -v[54:55]
	v_fma_f64 v[124:125], v[96:97], s[6:7], -v[34:35]
	v_add_f64 v[32:33], v[122:123], v[32:33]
	v_add_f64 v[6:7], v[114:115], v[6:7]
	v_mul_f64 v[114:115], v[108:109], s[26:27]
	v_fma_f64 v[8:9], v[110:111], s[2:3], -v[12:13]
	v_mul_f64 v[120:121], v[46:47], s[24:25]
	v_fma_f64 v[122:123], v[86:87], s[0:1], v[30:31]
	v_add_f64 v[112:113], v[2:3], v[112:113]
	v_add_f64 v[4:5], v[28:29], v[4:5]
	;; [unrolled: 1-line block ×3, first 2 shown]
	v_mul_f64 v[26:27], v[94:95], s[4:5]
	v_add_f64 v[32:33], v[124:125], v[32:33]
	v_mul_f64 v[124:125], v[104:105], s[24:25]
	v_fma_f64 v[126:127], v[106:107], s[0:1], -v[114:115]
	v_add_f64 v[8:9], v[0:1], v[8:9]
	v_fma_f64 v[28:29], v[96:97], s[6:7], v[34:35]
	v_mul_f64 v[34:35], v[42:43], s[18:19]
	v_fma_f64 v[128:129], v[80:81], s[14:15], v[120:121]
	v_add_f64 v[112:113], v[122:123], v[112:113]
	v_add_f64 v[4:5], v[24:25], v[4:5]
	v_fma_f64 v[118:119], v[90:91], s[2:3], -v[118:119]
	v_fma_f64 v[116:117], v[92:93], s[0:1], -v[26:27]
	;; [unrolled: 1-line block ×3, first 2 shown]
	v_add_f64 v[8:9], v[126:127], v[8:9]
	v_mul_f64 v[24:25], v[40:41], s[12:13]
	v_fma_f64 v[126:127], v[48:49], s[16:17], v[34:35]
	v_add_f64 v[112:113], v[128:129], v[112:113]
	v_fma_f64 v[26:27], v[92:93], s[0:1], v[26:27]
	v_fma_f64 v[30:31], v[86:87], s[0:1], -v[30:31]
	v_add_f64 v[118:119], v[2:3], v[118:119]
	v_add_f64 v[28:29], v[28:29], v[4:5]
	v_fma_f64 v[10:11], v[44:45], s[0:1], -v[10:11]
	v_mul_f64 v[122:123], v[98:99], s[18:19]
	v_add_f64 v[8:9], v[130:131], v[8:9]
	v_fma_f64 v[130:131], v[44:45], s[6:7], v[24:25]
	v_add_f64 v[112:113], v[126:127], v[112:113]
	v_add_f64 v[4:5], v[116:117], v[32:33]
	v_fma_f64 v[32:33], v[80:81], s[14:15], -v[120:121]
	v_add_f64 v[30:31], v[30:31], v[118:119]
	v_fma_f64 v[116:117], v[110:111], s[2:3], v[12:13]
	v_add_f64 v[12:13], v[26:27], v[28:29]
	v_mul_f64 v[28:29], v[88:89], s[4:5]
	v_mul_f64 v[128:129], v[94:95], s[12:13]
	v_fma_f64 v[132:133], v[96:97], s[16:17], -v[122:123]
	v_add_f64 v[14:15], v[10:11], v[14:15]
	v_add_f64 v[10:11], v[130:131], v[112:113]
	v_fma_f64 v[26:27], v[48:49], s[16:17], -v[34:35]
	v_add_f64 v[30:31], v[32:33], v[30:31]
	v_fma_f64 v[32:33], v[106:107], s[0:1], v[114:115]
	v_add_f64 v[34:35], v[0:1], v[116:117]
	v_mul_f64 v[112:113], v[84:85], s[28:29]
	v_fma_f64 v[114:115], v[90:91], s[0:1], v[28:29]
	v_mul_f64 v[118:119], v[100:101], s[4:5]
	v_fma_f64 v[126:127], v[92:93], s[6:7], -v[128:129]
	v_add_f64 v[8:9], v[132:133], v[8:9]
	v_fma_f64 v[116:117], v[102:103], s[14:15], v[124:125]
	v_add_f64 v[26:27], v[26:27], v[30:31]
	v_add_f64 v[32:33], v[32:33], v[34:35]
	v_mul_f64 v[30:31], v[46:47], s[12:13]
	v_fma_f64 v[34:35], v[86:87], s[16:17], v[112:113]
	v_add_f64 v[114:115], v[2:3], v[114:115]
	v_fma_f64 v[120:121], v[96:97], s[16:17], v[122:123]
	v_mul_f64 v[122:123], v[108:109], s[28:29]
	v_fma_f64 v[124:125], v[110:111], s[0:1], -v[118:119]
	v_add_f64 v[8:9], v[126:127], v[8:9]
	v_add_f64 v[32:33], v[116:117], v[32:33]
	v_fma_f64 v[116:117], v[92:93], s[6:7], v[128:129]
	v_mul_f64 v[126:127], v[42:43], s[24:25]
	v_fma_f64 v[128:129], v[80:81], s[6:7], v[30:31]
	v_add_f64 v[34:35], v[34:35], v[114:115]
	v_mul_f64 v[114:115], v[104:105], s[12:13]
	v_fma_f64 v[130:131], v[106:107], s[16:17], -v[122:123]
	v_add_f64 v[124:125], v[0:1], v[124:125]
	v_fma_f64 v[24:25], v[44:45], s[6:7], -v[24:25]
	v_add_f64 v[32:33], v[120:121], v[32:33]
	v_mul_f64 v[120:121], v[40:41], s[8:9]
	v_fma_f64 v[132:133], v[48:49], s[14:15], v[126:127]
	v_add_f64 v[34:35], v[128:129], v[34:35]
	v_mul_f64 v[128:129], v[98:99], s[24:25]
	v_fma_f64 v[134:135], v[102:103], s[6:7], -v[114:115]
	v_add_f64 v[124:125], v[130:131], v[124:125]
	v_fma_f64 v[28:29], v[90:91], s[0:1], -v[28:29]
	v_fma_f64 v[118:119], v[110:111], s[0:1], v[118:119]
	s_mov_b32 s13, 0xbfed1bb4
	v_add_f64 v[26:27], v[24:25], v[26:27]
	v_add_f64 v[24:25], v[116:117], v[32:33]
	v_mul_f64 v[32:33], v[94:95], s[8:9]
	v_fma_f64 v[116:117], v[44:45], s[2:3], v[120:121]
	v_add_f64 v[34:35], v[132:133], v[34:35]
	v_fma_f64 v[130:131], v[96:97], s[14:15], -v[128:129]
	v_add_f64 v[124:125], v[134:135], v[124:125]
	v_fma_f64 v[112:113], v[86:87], s[16:17], -v[112:113]
	v_add_f64 v[28:29], v[2:3], v[28:29]
	v_mul_f64 v[134:135], v[88:89], s[12:13]
	v_fma_f64 v[122:123], v[106:107], s[16:17], v[122:123]
	v_add_f64 v[118:119], v[0:1], v[118:119]
	v_add_f64 v[38:39], v[2:3], v[38:39]
	v_fma_f64 v[132:133], v[92:93], s[2:3], -v[32:33]
	v_add_f64 v[124:125], v[130:131], v[124:125]
	v_fma_f64 v[130:131], v[80:81], s[6:7], -v[30:31]
	v_add_f64 v[112:113], v[112:113], v[28:29]
	v_add_f64 v[30:31], v[116:117], v[34:35]
	v_mul_f64 v[116:117], v[84:85], s[8:9]
	v_fma_f64 v[34:35], v[90:91], s[6:7], v[134:135]
	v_fma_f64 v[114:115], v[102:103], s[6:7], v[114:115]
	v_add_f64 v[118:119], v[122:123], v[118:119]
	v_add_f64 v[36:37], v[36:37], v[0:1]
	;; [unrolled: 1-line block ×4, first 2 shown]
	v_fma_f64 v[122:123], v[48:49], s[14:15], -v[126:127]
	v_add_f64 v[112:113], v[130:131], v[112:113]
	v_mul_f64 v[124:125], v[46:47], s[28:29]
	v_fma_f64 v[126:127], v[86:87], s[2:3], v[116:117]
	v_add_f64 v[34:35], v[2:3], v[34:35]
	v_fma_f64 v[128:129], v[96:97], s[14:15], v[128:129]
	v_add_f64 v[114:115], v[114:115], v[118:119]
	v_fma_f64 v[118:119], v[44:45], s[2:3], -v[120:121]
	v_mul_f64 v[120:121], v[100:101], s[12:13]
	v_add_f64 v[70:71], v[70:71], v[36:37]
	v_add_f64 v[72:73], v[82:83], v[72:73]
	;; [unrolled: 1-line block ×3, first 2 shown]
	v_mul_f64 v[122:123], v[42:43], s[26:27]
	v_fma_f64 v[130:131], v[80:81], s[16:17], v[124:125]
	v_add_f64 v[126:127], v[126:127], v[34:35]
	v_fma_f64 v[32:33], v[92:93], s[2:3], v[32:33]
	v_add_f64 v[114:115], v[128:129], v[114:115]
	v_mul_f64 v[128:129], v[108:109], s[8:9]
	v_fma_f64 v[132:133], v[110:111], s[6:7], -v[120:121]
	v_add_f64 v[68:69], v[68:69], v[70:71]
	v_mul_f64 v[82:83], v[100:101], s[24:25]
	v_add_f64 v[60:61], v[60:61], v[72:73]
	v_add_f64 v[34:35], v[118:119], v[112:113]
	v_fma_f64 v[118:119], v[48:49], s[0:1], v[122:123]
	v_add_f64 v[126:127], v[130:131], v[126:127]
	v_mul_f64 v[130:131], v[104:105], s[28:29]
	v_add_f64 v[32:33], v[32:33], v[114:115]
	v_fma_f64 v[114:115], v[106:107], s[2:3], -v[128:129]
	v_add_f64 v[132:133], v[0:1], v[132:133]
	v_mul_f64 v[88:89], v[88:89], s[24:25]
	v_add_f64 v[58:59], v[58:59], v[68:69]
	v_mul_f64 v[136:137], v[94:95], s[22:23]
	v_mul_f64 v[70:71], v[94:95], s[18:19]
	;; [unrolled: 1-line block ×3, first 2 shown]
	v_fma_f64 v[94:95], v[110:111], s[14:15], -v[82:83]
	v_add_f64 v[52:53], v[52:53], v[60:61]
	v_add_f64 v[118:119], v[118:119], v[126:127]
	v_fma_f64 v[126:127], v[102:103], s[16:17], -v[130:131]
	v_fma_f64 v[134:135], v[90:91], s[6:7], -v[134:135]
	v_add_f64 v[114:115], v[114:115], v[132:133]
	v_fma_f64 v[120:121], v[110:111], s[6:7], v[120:121]
	v_mul_f64 v[84:85], v[84:85], s[12:13]
	v_fma_f64 v[144:145], v[90:91], s[14:15], v[88:89]
	v_fma_f64 v[88:89], v[90:91], s[14:15], -v[88:89]
	v_fma_f64 v[82:83], v[110:111], s[14:15], v[82:83]
	v_add_f64 v[50:51], v[50:51], v[58:59]
	v_mul_f64 v[90:91], v[104:105], s[4:5]
	v_fma_f64 v[60:61], v[106:107], s[6:7], -v[72:73]
	v_add_f64 v[94:95], v[0:1], v[94:95]
	v_add_f64 v[52:53], v[54:55], v[52:53]
	;; [unrolled: 1-line block ×4, first 2 shown]
	v_fma_f64 v[126:127], v[106:107], s[2:3], v[128:129]
	v_add_f64 v[120:121], v[0:1], v[120:121]
	v_mul_f64 v[128:129], v[46:47], s[4:5]
	v_add_f64 v[144:145], v[2:3], v[144:145]
	v_fma_f64 v[58:59], v[86:87], s[6:7], -v[84:85]
	v_add_f64 v[2:3], v[2:3], v[88:89]
	v_fma_f64 v[72:73], v[106:107], s[6:7], v[72:73]
	v_add_f64 v[0:1], v[0:1], v[82:83]
	v_add_f64 v[50:51], v[62:63], v[50:51]
	v_fma_f64 v[116:117], v[86:87], s[2:3], -v[116:117]
	v_mul_f64 v[68:69], v[98:99], s[8:9]
	v_fma_f64 v[54:55], v[102:103], s[0:1], -v[90:91]
	v_add_f64 v[60:61], v[60:61], v[94:95]
	v_add_f64 v[52:53], v[66:67], v[52:53]
	v_fma_f64 v[130:131], v[102:103], s[16:17], v[130:131]
	v_add_f64 v[120:121], v[126:127], v[120:121]
	v_mul_f64 v[126:127], v[42:43], s[8:9]
	v_fma_f64 v[62:63], v[80:81], s[0:1], -v[128:129]
	v_add_f64 v[2:3], v[58:59], v[2:3]
	v_fma_f64 v[58:59], v[102:103], s[0:1], v[90:91]
	v_add_f64 v[0:1], v[72:73], v[0:1]
	v_add_f64 v[50:51], v[64:65], v[50:51]
	v_fma_f64 v[124:125], v[80:81], s[16:17], -v[124:125]
	v_fma_f64 v[46:47], v[86:87], s[6:7], v[84:85]
	v_add_f64 v[116:117], v[116:117], v[134:135]
	v_fma_f64 v[66:67], v[96:97], s[2:3], -v[68:69]
	v_add_f64 v[54:55], v[54:55], v[60:61]
	v_add_f64 v[52:53], v[76:77], v[52:53]
	v_mul_f64 v[112:113], v[40:41], s[22:23]
	v_mul_f64 v[140:141], v[98:99], s[26:27]
	v_fma_f64 v[122:123], v[48:49], s[0:1], -v[122:123]
	v_add_f64 v[120:121], v[130:131], v[120:121]
	v_mul_f64 v[130:131], v[40:41], s[18:19]
	v_fma_f64 v[40:41], v[48:49], s[2:3], v[126:127]
	v_fma_f64 v[48:49], v[48:49], s[2:3], -v[126:127]
	v_add_f64 v[2:3], v[62:63], v[2:3]
	v_fma_f64 v[60:61], v[96:97], s[2:3], v[68:69]
	v_add_f64 v[0:1], v[58:59], v[0:1]
	v_add_f64 v[50:51], v[74:75], v[50:51]
	v_fma_f64 v[42:43], v[80:81], s[0:1], v[128:129]
	v_add_f64 v[46:47], v[46:47], v[144:145]
	v_add_f64 v[116:117], v[124:125], v[116:117]
	v_fma_f64 v[58:59], v[92:93], s[16:17], -v[70:71]
	v_add_f64 v[54:55], v[66:67], v[54:55]
	v_add_f64 v[52:53], v[78:79], v[52:53]
	v_fma_f64 v[142:143], v[96:97], s[0:1], -v[140:141]
	v_fma_f64 v[124:125], v[96:97], s[0:1], v[140:141]
	v_add_f64 v[2:3], v[48:49], v[2:3]
	v_fma_f64 v[48:49], v[92:93], s[16:17], v[70:71]
	v_add_f64 v[0:1], v[60:61], v[0:1]
	v_mad_u64_u32 v[60:61], s[0:1], s20, v192, 0
	v_add_f64 v[50:51], v[20:21], v[50:51]
	v_fma_f64 v[138:139], v[44:45], s[14:15], v[112:113]
	v_mov_b32_e32 v20, v61
	v_add_f64 v[42:43], v[42:43], v[46:47]
	v_fma_f64 v[46:47], v[44:45], s[14:15], -v[112:113]
	v_add_f64 v[112:113], v[122:123], v[116:117]
	v_fma_f64 v[122:123], v[44:45], s[16:17], v[130:131]
	v_fma_f64 v[62:63], v[44:45], s[16:17], -v[130:131]
	v_add_f64 v[44:45], v[58:59], v[54:55]
	v_mad_u64_u32 v[54:55], s[0:1], s21, v192, v[20:21]
	v_add_f64 v[20:21], v[22:23], v[52:53]
	v_mov_b32_e32 v22, s11
	v_add_co_u32_e32 v23, vcc, s10, v16
	v_addc_co_u32_e32 v22, vcc, v22, v17, vcc
	v_lshlrev_b64 v[16:17], 4, v[56:57]
	v_add_f64 v[0:1], v[48:49], v[0:1]
	v_add_f64 v[18:19], v[18:19], v[50:51]
	v_add_co_u32_e32 v51, vcc, v23, v16
	v_add_u32_e32 v48, 0x75, v192
	v_addc_co_u32_e32 v52, vcc, v22, v17, vcc
	v_mad_u64_u32 v[22:23], s[0:1], s20, v48, 0
	v_mov_b32_e32 v61, v54
	v_add_f64 v[2:3], v[62:63], v[2:3]
	v_mad_u64_u32 v[48:49], s[0:1], s21, v48, v[23:24]
	v_lshlrev_b64 v[16:17], 4, v[60:61]
	v_fma_f64 v[116:117], v[92:93], s[14:15], v[136:137]
	v_add_f64 v[120:121], v[124:125], v[120:121]
	v_add_co_u32_e32 v16, vcc, v51, v16
	v_addc_co_u32_e32 v17, vcc, v52, v17, vcc
	v_add_u32_e32 v53, 0xea, v192
	v_mov_b32_e32 v23, v48
	v_mad_u64_u32 v[49:50], s[0:1], s20, v53, 0
	global_store_dwordx4 v[16:17], v[18:21], off
	v_lshlrev_b64 v[16:17], 4, v[22:23]
	v_mov_b32_e32 v18, v50
	v_add_co_u32_e32 v16, vcc, v51, v16
	v_addc_co_u32_e32 v17, vcc, v52, v17, vcc
	global_store_dwordx4 v[16:17], v[0:3], off
	v_add_u32_e32 v16, 0x15f, v192
	v_mad_u64_u32 v[18:19], s[0:1], s21, v53, v[18:19]
	v_mad_u64_u32 v[2:3], s[0:1], s20, v16, 0
	v_add_f64 v[124:125], v[40:41], v[42:43]
	v_add_f64 v[42:43], v[46:47], v[112:113]
	;; [unrolled: 1-line block ×3, first 2 shown]
	v_mov_b32_e32 v50, v18
	v_mad_u64_u32 v[16:17], s[0:1], s21, v16, v[3:4]
	v_add_u32_e32 v19, 0x1d4, v192
	v_lshlrev_b64 v[0:1], 4, v[49:50]
	v_mad_u64_u32 v[17:18], s[0:1], s20, v19, 0
	v_add_co_u32_e32 v0, vcc, v51, v0
	v_addc_co_u32_e32 v1, vcc, v52, v1, vcc
	v_mov_b32_e32 v3, v16
	global_store_dwordx4 v[0:1], v[40:43], off
	v_lshlrev_b64 v[0:1], 4, v[2:3]
	v_mov_b32_e32 v2, v18
	v_mad_u64_u32 v[2:3], s[0:1], s21, v19, v[2:3]
	v_add_u32_e32 v16, 0x249, v192
	v_add_co_u32_e32 v0, vcc, v51, v0
	v_mov_b32_e32 v18, v2
	v_mad_u64_u32 v[2:3], s[0:1], s20, v16, 0
	v_addc_co_u32_e32 v1, vcc, v52, v1, vcc
	global_store_dwordx4 v[0:1], v[32:35], off
	v_lshlrev_b64 v[0:1], 4, v[17:18]
	v_mad_u64_u32 v[16:17], s[0:1], s21, v16, v[3:4]
	v_add_u32_e32 v19, 0x2be, v192
	v_mad_u64_u32 v[17:18], s[0:1], s20, v19, 0
	v_add_co_u32_e32 v0, vcc, v51, v0
	v_addc_co_u32_e32 v1, vcc, v52, v1, vcc
	v_mov_b32_e32 v3, v16
	global_store_dwordx4 v[0:1], v[24:27], off
	v_lshlrev_b64 v[0:1], 4, v[2:3]
	v_mov_b32_e32 v2, v18
	v_mad_u64_u32 v[2:3], s[0:1], s21, v19, v[2:3]
	v_add_co_u32_e32 v0, vcc, v51, v0
	v_addc_co_u32_e32 v1, vcc, v52, v1, vcc
	global_store_dwordx4 v[0:1], v[12:15], off
	v_mov_b32_e32 v18, v2
	v_add_u32_e32 v12, 0x333, v192
	v_mad_u64_u32 v[2:3], s[0:1], s20, v12, 0
	v_add_u32_e32 v15, 0x3a8, v192
	v_lshlrev_b64 v[0:1], 4, v[17:18]
	v_mad_u64_u32 v[12:13], s[0:1], s21, v12, v[3:4]
	v_mad_u64_u32 v[13:14], s[0:1], s20, v15, 0
	v_add_co_u32_e32 v0, vcc, v51, v0
	v_addc_co_u32_e32 v1, vcc, v52, v1, vcc
	v_mov_b32_e32 v3, v12
	global_store_dwordx4 v[0:1], v[4:7], off
	v_lshlrev_b64 v[0:1], 4, v[2:3]
	v_mov_b32_e32 v2, v14
	v_mad_u64_u32 v[2:3], s[0:1], s21, v15, v[2:3]
	v_fma_f64 v[132:133], v[92:93], s[14:15], -v[136:137]
	v_add_f64 v[114:115], v[142:143], v[114:115]
	v_add_u32_e32 v4, 0x41d, v192
	v_mov_b32_e32 v14, v2
	v_mad_u64_u32 v[2:3], s[0:1], s20, v4, 0
	v_add_co_u32_e32 v0, vcc, v51, v0
	v_addc_co_u32_e32 v1, vcc, v52, v1, vcc
	v_mad_u64_u32 v[3:4], s[0:1], s21, v4, v[3:4]
	v_add_u32_e32 v6, 0x492, v192
	global_store_dwordx4 v[0:1], v[8:11], off
	v_lshlrev_b64 v[0:1], 4, v[13:14]
	v_mad_u64_u32 v[4:5], s[0:1], s20, v6, 0
	v_add_f64 v[38:39], v[138:139], v[118:119]
	v_add_f64 v[36:37], v[132:133], v[114:115]
	v_add_co_u32_e32 v0, vcc, v51, v0
	v_addc_co_u32_e32 v1, vcc, v52, v1, vcc
	global_store_dwordx4 v[0:1], v[28:31], off
	v_lshlrev_b64 v[0:1], 4, v[2:3]
	v_mov_b32_e32 v2, v5
	v_mad_u64_u32 v[2:3], s[0:1], s21, v6, v[2:3]
	v_add_f64 v[46:47], v[122:123], v[124:125]
	v_add_co_u32_e32 v0, vcc, v51, v0
	v_addc_co_u32_e32 v1, vcc, v52, v1, vcc
	v_mov_b32_e32 v5, v2
	global_store_dwordx4 v[0:1], v[36:39], off
	v_lshlrev_b64 v[0:1], 4, v[4:5]
	v_add_co_u32_e32 v0, vcc, v51, v0
	v_addc_co_u32_e32 v1, vcc, v52, v1, vcc
	global_store_dwordx4 v[0:1], v[44:47], off
.LBB0_27:
	s_endpgm
	.section	.rodata,"a",@progbits
	.p2align	6, 0x0
	.amdhsa_kernel fft_rtc_back_len1287_factors_3_13_3_11_wgs_117_tpt_117_dp_op_CI_CI_sbrr_dirReg
		.amdhsa_group_segment_fixed_size 0
		.amdhsa_private_segment_fixed_size 0
		.amdhsa_kernarg_size 104
		.amdhsa_user_sgpr_count 6
		.amdhsa_user_sgpr_private_segment_buffer 1
		.amdhsa_user_sgpr_dispatch_ptr 0
		.amdhsa_user_sgpr_queue_ptr 0
		.amdhsa_user_sgpr_kernarg_segment_ptr 1
		.amdhsa_user_sgpr_dispatch_id 0
		.amdhsa_user_sgpr_flat_scratch_init 0
		.amdhsa_user_sgpr_private_segment_size 0
		.amdhsa_uses_dynamic_stack 0
		.amdhsa_system_sgpr_private_segment_wavefront_offset 0
		.amdhsa_system_sgpr_workgroup_id_x 1
		.amdhsa_system_sgpr_workgroup_id_y 0
		.amdhsa_system_sgpr_workgroup_id_z 0
		.amdhsa_system_sgpr_workgroup_info 0
		.amdhsa_system_vgpr_workitem_id 0
		.amdhsa_next_free_vgpr 256
		.amdhsa_next_free_sgpr 50
		.amdhsa_reserve_vcc 1
		.amdhsa_reserve_flat_scratch 0
		.amdhsa_float_round_mode_32 0
		.amdhsa_float_round_mode_16_64 0
		.amdhsa_float_denorm_mode_32 3
		.amdhsa_float_denorm_mode_16_64 3
		.amdhsa_dx10_clamp 1
		.amdhsa_ieee_mode 1
		.amdhsa_fp16_overflow 0
		.amdhsa_exception_fp_ieee_invalid_op 0
		.amdhsa_exception_fp_denorm_src 0
		.amdhsa_exception_fp_ieee_div_zero 0
		.amdhsa_exception_fp_ieee_overflow 0
		.amdhsa_exception_fp_ieee_underflow 0
		.amdhsa_exception_fp_ieee_inexact 0
		.amdhsa_exception_int_div_zero 0
	.end_amdhsa_kernel
	.text
.Lfunc_end0:
	.size	fft_rtc_back_len1287_factors_3_13_3_11_wgs_117_tpt_117_dp_op_CI_CI_sbrr_dirReg, .Lfunc_end0-fft_rtc_back_len1287_factors_3_13_3_11_wgs_117_tpt_117_dp_op_CI_CI_sbrr_dirReg
                                        ; -- End function
	.section	.AMDGPU.csdata,"",@progbits
; Kernel info:
; codeLenInByte = 12488
; NumSgprs: 54
; NumVgprs: 256
; ScratchSize: 0
; MemoryBound: 1
; FloatMode: 240
; IeeeMode: 1
; LDSByteSize: 0 bytes/workgroup (compile time only)
; SGPRBlocks: 6
; VGPRBlocks: 63
; NumSGPRsForWavesPerEU: 54
; NumVGPRsForWavesPerEU: 256
; Occupancy: 1
; WaveLimiterHint : 1
; COMPUTE_PGM_RSRC2:SCRATCH_EN: 0
; COMPUTE_PGM_RSRC2:USER_SGPR: 6
; COMPUTE_PGM_RSRC2:TRAP_HANDLER: 0
; COMPUTE_PGM_RSRC2:TGID_X_EN: 1
; COMPUTE_PGM_RSRC2:TGID_Y_EN: 0
; COMPUTE_PGM_RSRC2:TGID_Z_EN: 0
; COMPUTE_PGM_RSRC2:TIDIG_COMP_CNT: 0
	.type	__hip_cuid_f1ef6e0be604d91c,@object ; @__hip_cuid_f1ef6e0be604d91c
	.section	.bss,"aw",@nobits
	.globl	__hip_cuid_f1ef6e0be604d91c
__hip_cuid_f1ef6e0be604d91c:
	.byte	0                               ; 0x0
	.size	__hip_cuid_f1ef6e0be604d91c, 1

	.ident	"AMD clang version 19.0.0git (https://github.com/RadeonOpenCompute/llvm-project roc-6.4.0 25133 c7fe45cf4b819c5991fe208aaa96edf142730f1d)"
	.section	".note.GNU-stack","",@progbits
	.addrsig
	.addrsig_sym __hip_cuid_f1ef6e0be604d91c
	.amdgpu_metadata
---
amdhsa.kernels:
  - .args:
      - .actual_access:  read_only
        .address_space:  global
        .offset:         0
        .size:           8
        .value_kind:     global_buffer
      - .offset:         8
        .size:           8
        .value_kind:     by_value
      - .actual_access:  read_only
        .address_space:  global
        .offset:         16
        .size:           8
        .value_kind:     global_buffer
      - .actual_access:  read_only
        .address_space:  global
        .offset:         24
        .size:           8
        .value_kind:     global_buffer
      - .actual_access:  read_only
        .address_space:  global
        .offset:         32
        .size:           8
        .value_kind:     global_buffer
      - .offset:         40
        .size:           8
        .value_kind:     by_value
      - .actual_access:  read_only
        .address_space:  global
        .offset:         48
        .size:           8
        .value_kind:     global_buffer
      - .actual_access:  read_only
        .address_space:  global
        .offset:         56
        .size:           8
        .value_kind:     global_buffer
      - .offset:         64
        .size:           4
        .value_kind:     by_value
      - .actual_access:  read_only
        .address_space:  global
        .offset:         72
        .size:           8
        .value_kind:     global_buffer
      - .actual_access:  read_only
        .address_space:  global
        .offset:         80
        .size:           8
        .value_kind:     global_buffer
      - .actual_access:  read_only
        .address_space:  global
        .offset:         88
        .size:           8
        .value_kind:     global_buffer
      - .actual_access:  write_only
        .address_space:  global
        .offset:         96
        .size:           8
        .value_kind:     global_buffer
    .group_segment_fixed_size: 0
    .kernarg_segment_align: 8
    .kernarg_segment_size: 104
    .language:       OpenCL C
    .language_version:
      - 2
      - 0
    .max_flat_workgroup_size: 117
    .name:           fft_rtc_back_len1287_factors_3_13_3_11_wgs_117_tpt_117_dp_op_CI_CI_sbrr_dirReg
    .private_segment_fixed_size: 0
    .sgpr_count:     54
    .sgpr_spill_count: 0
    .symbol:         fft_rtc_back_len1287_factors_3_13_3_11_wgs_117_tpt_117_dp_op_CI_CI_sbrr_dirReg.kd
    .uniform_work_group_size: 1
    .uses_dynamic_stack: false
    .vgpr_count:     256
    .vgpr_spill_count: 0
    .wavefront_size: 64
amdhsa.target:   amdgcn-amd-amdhsa--gfx906
amdhsa.version:
  - 1
  - 2
...

	.end_amdgpu_metadata
